;; amdgpu-corpus repo=ROCm/rocFFT kind=compiled arch=gfx1030 opt=O3
	.text
	.amdgcn_target "amdgcn-amd-amdhsa--gfx1030"
	.amdhsa_code_object_version 6
	.protected	bluestein_single_back_len1430_dim1_half_op_CI_CI ; -- Begin function bluestein_single_back_len1430_dim1_half_op_CI_CI
	.globl	bluestein_single_back_len1430_dim1_half_op_CI_CI
	.p2align	8
	.type	bluestein_single_back_len1430_dim1_half_op_CI_CI,@function
bluestein_single_back_len1430_dim1_half_op_CI_CI: ; @bluestein_single_back_len1430_dim1_half_op_CI_CI
; %bb.0:
	s_load_dwordx4 s[0:3], s[4:5], 0x28
	v_mul_u32_u24_e32 v1, 0x1cb, v0
	v_mov_b32_e32 v17, 0
	v_lshrrev_b32_e32 v1, 16, v1
	v_add_nc_u32_e32 v16, s6, v1
	s_waitcnt lgkmcnt(0)
	v_cmp_gt_u64_e32 vcc_lo, s[0:1], v[16:17]
	s_and_saveexec_b32 s0, vcc_lo
	s_cbranch_execz .LBB0_23
; %bb.1:
	s_clause 0x1
	s_load_dwordx2 s[14:15], s[4:5], 0x0
	s_load_dwordx2 s[12:13], s[4:5], 0x38
	v_mul_lo_u16 v1, 0x8f, v1
	v_sub_nc_u16 v0, v0, v1
	v_and_b32_e32 v34, 0xffff, v0
	v_cmp_gt_u16_e32 vcc_lo, 0x6e, v0
	v_lshlrev_b32_e32 v33, 2, v34
	s_and_saveexec_b32 s1, vcc_lo
	s_cbranch_execz .LBB0_3
; %bb.2:
	s_load_dwordx2 s[6:7], s[4:5], 0x18
	v_add_nc_u32_e32 v29, 0x600, v33
	v_add_nc_u32_e32 v35, 0xa00, v33
	s_waitcnt lgkmcnt(0)
	s_load_dwordx4 s[8:11], s[6:7], 0x0
	s_clause 0x4
	global_load_dword v8, v33, s[14:15]
	global_load_dword v9, v33, s[14:15] offset:440
	global_load_dword v10, v33, s[14:15] offset:880
	;; [unrolled: 1-line block ×4, first 2 shown]
	s_waitcnt lgkmcnt(0)
	v_mad_u64_u32 v[0:1], null, s10, v16, 0
	v_mad_u64_u32 v[2:3], null, s8, v34, 0
	s_mul_i32 s6, s9, 0x1b8
	s_mul_hi_u32 s7, s8, 0x1b8
	s_add_i32 s7, s7, s6
	v_mad_u64_u32 v[4:5], null, s11, v16, v[1:2]
	v_mad_u64_u32 v[5:6], null, s9, v34, v[3:4]
	v_mov_b32_e32 v1, v4
	v_add_co_u32 v6, s0, s14, v33
	v_add_co_ci_u32_e64 v7, null, s15, 0, s0
	v_lshlrev_b64 v[0:1], 2, v[0:1]
	v_mov_b32_e32 v3, v5
	v_add_co_u32 v4, s0, 0x800, v6
	v_add_co_ci_u32_e64 v5, s0, 0, v7, s0
	v_lshlrev_b64 v[2:3], 2, v[2:3]
	v_add_co_u32 v0, s0, s2, v0
	v_add_co_ci_u32_e64 v1, s0, s3, v1, s0
	s_mul_i32 s2, s8, 0x1b8
	v_add_co_u32 v0, s0, v0, v2
	v_add_co_ci_u32_e64 v1, s0, v1, v3, s0
	v_add_co_u32 v2, s0, v0, s2
	v_add_co_ci_u32_e64 v3, s0, s7, v1, s0
	s_clause 0x1
	global_load_dword v13, v[0:1], off
	global_load_dword v14, v[2:3], off
	v_add_co_u32 v0, s0, v2, s2
	v_add_co_ci_u32_e64 v1, s0, s7, v3, s0
	v_add_co_u32 v2, s0, v0, s2
	v_add_co_ci_u32_e64 v3, s0, s7, v1, s0
	s_clause 0x1
	global_load_dword v15, v[0:1], off
	global_load_dword v17, v[2:3], off
	v_add_co_u32 v0, s0, v2, s2
	v_add_co_ci_u32_e64 v1, s0, s7, v3, s0
	v_add_co_u32 v2, s0, v0, s2
	v_add_co_ci_u32_e64 v3, s0, s7, v1, s0
	global_load_dword v18, v[0:1], off
	v_add_co_u32 v0, s0, v2, s2
	v_add_co_ci_u32_e64 v1, s0, s7, v3, s0
	v_add_co_u32 v6, s0, 0x1000, v6
	global_load_dword v19, v[4:5], off offset:152
	global_load_dword v20, v[2:3], off
	global_load_dword v21, v[0:1], off
	v_add_co_ci_u32_e64 v7, s0, 0, v7, s0
	v_add_co_u32 v0, s0, v0, s2
	v_add_co_ci_u32_e64 v1, s0, s7, v1, s0
	s_clause 0x3
	global_load_dword v22, v[4:5], off offset:592
	global_load_dword v23, v[4:5], off offset:1032
	;; [unrolled: 1-line block ×4, first 2 shown]
	v_add_co_u32 v2, s0, v0, s2
	v_add_co_ci_u32_e64 v3, s0, s7, v1, s0
	global_load_dword v5, v[0:1], off
	v_add_co_u32 v0, s0, v2, s2
	v_add_co_ci_u32_e64 v1, s0, s7, v3, s0
	global_load_dword v25, v[2:3], off
	;; [unrolled: 3-line block ×4, first 2 shown]
	v_add_co_u32 v2, s0, v0, s2
	v_add_co_ci_u32_e64 v3, s0, s7, v1, s0
	global_load_dword v28, v[6:7], off offset:304
	global_load_dword v0, v[0:1], off
	global_load_dword v1, v[2:3], off
	s_clause 0x1
	global_load_dword v2, v[6:7], off offset:744
	global_load_dword v3, v[6:7], off offset:1184
	v_add_nc_u32_e32 v7, 0x200, v33
	s_waitcnt vmcnt(20)
	v_lshrrev_b32_e32 v6, 16, v13
	v_mul_f16_sdwa v30, v8, v13 dst_sel:DWORD dst_unused:UNUSED_PAD src0_sel:WORD_1 src1_sel:DWORD
	s_waitcnt vmcnt(19)
	v_lshrrev_b32_e32 v32, 16, v14
	v_mul_f16_sdwa v36, v9, v14 dst_sel:DWORD dst_unused:UNUSED_PAD src0_sel:WORD_1 src1_sel:DWORD
	v_mul_f16_sdwa v31, v8, v6 dst_sel:DWORD dst_unused:UNUSED_PAD src0_sel:WORD_1 src1_sel:DWORD
	v_fma_f16 v6, v8, v6, -v30
	v_fma_f16 v30, v9, v32, -v36
	v_fmac_f16_e32 v31, v8, v13
	v_mul_f16_sdwa v8, v9, v32 dst_sel:DWORD dst_unused:UNUSED_PAD src0_sel:WORD_1 src1_sel:DWORD
	s_waitcnt vmcnt(18)
	v_lshrrev_b32_e32 v13, 16, v15
	v_mul_f16_sdwa v32, v10, v15 dst_sel:DWORD dst_unused:UNUSED_PAD src0_sel:WORD_1 src1_sel:DWORD
	v_pack_b32_f16 v6, v31, v6
	v_fmac_f16_e32 v8, v9, v14
	s_waitcnt vmcnt(17)
	v_lshrrev_b32_e32 v14, 16, v17
	v_mul_f16_sdwa v9, v10, v13 dst_sel:DWORD dst_unused:UNUSED_PAD src0_sel:WORD_1 src1_sel:DWORD
	v_mul_f16_sdwa v31, v11, v17 dst_sel:DWORD dst_unused:UNUSED_PAD src0_sel:WORD_1 src1_sel:DWORD
	v_fma_f16 v13, v10, v13, -v32
	v_pack_b32_f16 v8, v8, v30
	v_fmac_f16_e32 v9, v10, v15
	v_mul_f16_sdwa v10, v11, v14 dst_sel:DWORD dst_unused:UNUSED_PAD src0_sel:WORD_1 src1_sel:DWORD
	v_fma_f16 v14, v11, v14, -v31
	s_waitcnt vmcnt(16)
	v_lshrrev_b32_e32 v15, 16, v18
	v_mul_f16_sdwa v30, v12, v18 dst_sel:DWORD dst_unused:UNUSED_PAD src0_sel:WORD_1 src1_sel:DWORD
	ds_write2_b32 v33, v6, v8 offset1:110
	v_pack_b32_f16 v6, v9, v13
	v_fmac_f16_e32 v10, v11, v17
	v_mul_f16_sdwa v8, v12, v15 dst_sel:DWORD dst_unused:UNUSED_PAD src0_sel:WORD_1 src1_sel:DWORD
	s_waitcnt vmcnt(14)
	v_lshrrev_b32_e32 v9, 16, v20
	v_mul_f16_sdwa v11, v19, v20 dst_sel:DWORD dst_unused:UNUSED_PAD src0_sel:WORD_1 src1_sel:DWORD
	v_fma_f16 v13, v12, v15, -v30
	v_pack_b32_f16 v10, v10, v14
	v_fmac_f16_e32 v8, v12, v18
	v_mul_f16_sdwa v12, v19, v9 dst_sel:DWORD dst_unused:UNUSED_PAD src0_sel:WORD_1 src1_sel:DWORD
	v_fma_f16 v9, v19, v9, -v11
	s_waitcnt vmcnt(13)
	v_lshrrev_b32_e32 v11, 16, v21
	s_waitcnt vmcnt(12)
	v_mul_f16_sdwa v14, v22, v21 dst_sel:DWORD dst_unused:UNUSED_PAD src0_sel:WORD_1 src1_sel:DWORD
	ds_write2_b32 v7, v6, v10 offset0:92 offset1:202
	v_pack_b32_f16 v6, v8, v13
	v_fmac_f16_e32 v12, v19, v20
	v_mul_f16_sdwa v7, v22, v11 dst_sel:DWORD dst_unused:UNUSED_PAD src0_sel:WORD_1 src1_sel:DWORD
	s_waitcnt vmcnt(8)
	v_lshrrev_b32_e32 v8, 16, v5
	v_fma_f16 v10, v22, v11, -v14
	v_mul_f16_sdwa v11, v23, v5 dst_sel:DWORD dst_unused:UNUSED_PAD src0_sel:WORD_1 src1_sel:DWORD
	v_pack_b32_f16 v9, v12, v9
	v_fmac_f16_e32 v7, v22, v21
	v_mul_f16_sdwa v12, v23, v8 dst_sel:DWORD dst_unused:UNUSED_PAD src0_sel:WORD_1 src1_sel:DWORD
	s_waitcnt vmcnt(7)
	v_lshrrev_b32_e32 v13, 16, v25
	v_fma_f16 v8, v23, v8, -v11
	v_mul_f16_sdwa v11, v24, v25 dst_sel:DWORD dst_unused:UNUSED_PAD src0_sel:WORD_1 src1_sel:DWORD
	;; [unrolled: 7-line block ×3, first 2 shown]
	v_pack_b32_f16 v8, v12, v8
	v_fmac_f16_e32 v5, v24, v25
	v_mul_f16_sdwa v12, v4, v10 dst_sel:DWORD dst_unused:UNUSED_PAD src0_sel:WORD_1 src1_sel:DWORD
	s_waitcnt vmcnt(5)
	v_lshrrev_b32_e32 v14, 16, v27
	v_fma_f16 v10, v4, v10, -v13
	s_waitcnt vmcnt(4)
	v_mul_f16_sdwa v13, v28, v27 dst_sel:DWORD dst_unused:UNUSED_PAD src0_sel:WORD_1 src1_sel:DWORD
	v_pack_b32_f16 v5, v5, v11
	v_fmac_f16_e32 v12, v4, v26
	s_waitcnt vmcnt(3)
	v_lshrrev_b32_e32 v11, 16, v0
	s_waitcnt vmcnt(2)
	v_lshrrev_b32_e32 v15, 16, v1
	v_mul_f16_sdwa v4, v28, v14 dst_sel:DWORD dst_unused:UNUSED_PAD src0_sel:WORD_1 src1_sel:DWORD
	v_fma_f16 v13, v28, v14, -v13
	s_waitcnt vmcnt(1)
	v_mul_f16_sdwa v14, v2, v0 dst_sel:DWORD dst_unused:UNUSED_PAD src0_sel:WORD_1 src1_sel:DWORD
	v_pack_b32_f16 v10, v12, v10
	v_mul_f16_sdwa v12, v2, v11 dst_sel:DWORD dst_unused:UNUSED_PAD src0_sel:WORD_1 src1_sel:DWORD
	s_waitcnt vmcnt(0)
	v_mul_f16_sdwa v17, v3, v15 dst_sel:DWORD dst_unused:UNUSED_PAD src0_sel:WORD_1 src1_sel:DWORD
	v_mul_f16_sdwa v18, v3, v1 dst_sel:DWORD dst_unused:UNUSED_PAD src0_sel:WORD_1 src1_sel:DWORD
	v_fmac_f16_e32 v4, v28, v27
	v_fma_f16 v11, v2, v11, -v14
	v_fmac_f16_e32 v12, v2, v0
	v_fmac_f16_e32 v17, v3, v1
	v_fma_f16 v0, v3, v15, -v18
	v_add_nc_u32_e32 v1, 0xc00, v33
	v_pack_b32_f16 v2, v4, v13
	v_pack_b32_f16 v3, v12, v11
	v_add_nc_u32_e32 v4, 0x1000, v33
	v_pack_b32_f16 v0, v17, v0
	ds_write2_b32 v29, v6, v9 offset0:56 offset1:166
	ds_write2_b32 v35, v7, v8 offset0:20 offset1:130
	;; [unrolled: 1-line block ×4, first 2 shown]
	ds_write_b32 v33, v0 offset:5280
.LBB0_3:
	s_or_b32 exec_lo, exec_lo, s1
	v_mov_b32_e32 v0, 0
	s_waitcnt lgkmcnt(0)
	s_barrier
	buffer_gl0_inv
                                        ; implicit-def: $vgpr3
                                        ; implicit-def: $vgpr6
                                        ; implicit-def: $vgpr9
                                        ; implicit-def: $vgpr4
                                        ; implicit-def: $vgpr11
                                        ; implicit-def: $vgpr12
	s_and_saveexec_b32 s0, vcc_lo
	s_cbranch_execz .LBB0_5
; %bb.4:
	v_add_nc_u32_e32 v2, 0x200, v33
	v_add_nc_u32_e32 v3, 0x600, v33
	;; [unrolled: 1-line block ×5, first 2 shown]
	ds_read2_b32 v[0:1], v33 offset1:110
	ds_read2_b32 v[10:11], v2 offset0:92 offset1:202
	ds_read2_b32 v[8:9], v3 offset0:56 offset1:166
	;; [unrolled: 1-line block ×5, first 2 shown]
	ds_read_b32 v12, v33 offset:5280
.LBB0_5:
	s_or_b32 exec_lo, exec_lo, s0
	s_waitcnt lgkmcnt(0)
	v_pk_add_f16 v25, v12, v1
	v_pk_add_f16 v26, v1, v12 neg_lo:[0,1] neg_hi:[0,1]
	v_mov_b32_e32 v14, 0xb770
	v_pk_add_f16 v1, v1, v0
	v_pk_add_f16 v39, v10, v5 neg_lo:[0,1] neg_hi:[0,1]
	v_mov_b32_e32 v24, 0xbbf1
	v_pk_add_f16 v43, v11, v4 neg_lo:[0,1] neg_hi:[0,1]
	v_mul_f16_sdwa v22, v26, v14 dst_sel:DWORD dst_unused:UNUSED_PAD src0_sel:WORD_1 src1_sel:DWORD
	v_pk_add_f16 v14, v5, v10
	v_pk_add_f16 v10, v10, v1
	;; [unrolled: 1-line block ×3, first 2 shown]
	v_mov_b32_e32 v13, 0x3b15
	v_mov_b32_e32 v17, 0xba95
	;; [unrolled: 1-line block ×3, first 2 shown]
	v_pk_add_f16 v11, v11, v10
	v_mul_f16_sdwa v46, v43, v24 dst_sel:DWORD dst_unused:UNUSED_PAD src0_sel:WORD_1 src1_sel:DWORD
	v_pk_add_f16 v49, v8, v7 neg_lo:[0,1] neg_hi:[0,1]
	v_lshrrev_b32_e32 v50, 16, v18
	v_pk_add_f16 v1, v7, v8
	v_mul_f16_e32 v51, 0xbbf1, v43
	v_pk_add_f16 v53, v9, v6 neg_lo:[0,1] neg_hi:[0,1]
	v_pk_add_f16 v10, v6, v9
	v_pk_add_f16 v8, v8, v11
	v_mul_f16_sdwa v20, v25, v13 dst_sel:WORD_1 dst_unused:UNUSED_PAD src0_sel:DWORD src1_sel:DWORD
	v_mov_b32_e32 v13, 0xbb7b
	v_mul_f16_sdwa v42, v39, v17 dst_sel:DWORD dst_unused:UNUSED_PAD src0_sel:WORD_1 src1_sel:DWORD
	v_lshrrev_b32_e32 v23, 16, v14
	v_mul_f16_e32 v44, 0xba95, v39
	v_fma_f16 v48, v18, 0x2fb7, -v46
	v_mul_f16_sdwa v56, v53, v15 dst_sel:DWORD dst_unused:UNUSED_PAD src0_sel:WORD_1 src1_sel:DWORD
	v_fmamk_f16 v11, v50, 0x2fb7, v51
	v_pk_add_f16 v8, v9, v8
	v_lshrrev_b32_e32 v9, 16, v10
	v_mul_f16_e32 v60, 0xb94e, v53
	v_lshrrev_b32_e32 v19, 16, v25
	v_mul_f16_e32 v21, 0xb770, v26
	v_mul_f16_sdwa v27, v26, v17 dst_sel:DWORD dst_unused:UNUSED_PAD src0_sel:WORD_1 src1_sel:DWORD
	v_fma_f16 v45, v14, 0x388b, -v42
	v_fmamk_f16 v47, v23, 0x388b, v44
	v_mul_f16_sdwa v52, v49, v13 dst_sel:DWORD dst_unused:UNUSED_PAD src0_sel:WORD_1 src1_sel:DWORD
	v_lshrrev_b32_e32 v54, 16, v1
	v_mul_f16_e32 v55, 0xbb7b, v49
	v_fma_f16 v59, v10, 0xb9fd, -v56
	v_alignbit_b32 v48, v48, v7, 16
	v_perm_b32 v7, v7, v11, 0x5040100
	v_fmamk_f16 v11, v9, 0xb9fd, v60
	v_fmamk_f16 v28, v25, 0x3b15, v22
	v_mul_f16_e32 v29, 0xba95, v26
	v_fma_f16 v30, v19, 0x3b15, -v21
	v_fma_f16 v31, v25, 0x388b, -v27
	v_mul_f16_sdwa v32, v26, v24 dst_sel:DWORD dst_unused:UNUSED_PAD src0_sel:WORD_1 src1_sel:DWORD
	v_mul_f16_sdwa v37, v26, v13 dst_sel:DWORD dst_unused:UNUSED_PAD src0_sel:WORD_1 src1_sel:DWORD
	;; [unrolled: 1-line block ×3, first 2 shown]
	v_fma_f16 v57, v1, 0xb5ac, -v52
	v_fmamk_f16 v58, v54, 0xb5ac, v55
	v_alignbit_b32 v45, v45, v6, 16
	v_perm_b32 v6, v6, v47, 0x5040100
	v_pk_mul_f16 v47, 0xb3a8bbf1, v26
	v_alignbit_b32 v59, v59, v5, 16
	v_perm_b32 v5, v5, v11, 0x5040100
	v_mul_f16_sdwa v11, v39, v13 dst_sel:DWORD dst_unused:UNUSED_PAD src0_sel:WORD_1 src1_sel:DWORD
	v_fmamk_f16 v35, v19, 0x388b, v29
	v_fmac_f16_e32 v27, 0x388b, v25
	v_fma_f16 v36, v25, 0x2fb7, -v32
	v_fmac_f16_e32 v32, 0x2fb7, v25
	v_fma_f16 v40, v25, 0xb5ac, -v37
	;; [unrolled: 2-line block ×3, first 2 shown]
	v_fmac_f16_e32 v38, 0xb9fd, v25
	v_fmac_f16_e32 v42, 0x388b, v14
	v_fma_f16 v44, v23, 0x388b, -v44
	v_alignbit_b32 v57, v57, v4, 16
	v_perm_b32 v4, v4, v58, 0x5040100
	v_add_f16_e32 v28, v28, v0
	v_pk_fma_f16 v58, 0x2fb7bbc4, v25, v47 op_sel:[0,0,1] op_sel_hi:[1,1,0]
	v_pk_fma_f16 v25, 0x2fb7bbc4, v25, v47 op_sel:[0,0,1] op_sel_hi:[1,1,0] neg_lo:[0,0,1] neg_hi:[0,0,1]
	v_add_f16_sdwa v30, v30, v0 dst_sel:DWORD dst_unused:UNUSED_PAD src0_sel:DWORD src1_sel:WORD_1
	v_mul_f16_e32 v47, 0xbb7b, v39
	v_fma_f16 v61, v14, 0xb5ac, -v11
	v_add_f16_e32 v31, v31, v0
	v_fma_f16 v29, v19, 0x388b, -v29
	v_add_f16_e32 v28, v42, v28
	v_add_f16_e32 v30, v44, v30
	v_fmamk_f16 v42, v23, 0xb5ac, v47
	v_add_f16_sdwa v35, v35, v0 dst_sel:DWORD dst_unused:UNUSED_PAD src0_sel:DWORD src1_sel:WORD_1
	v_add_f16_e32 v31, v61, v31
	v_mov_b32_e32 v44, 0xb3a8
	v_fma_f16 v47, v23, 0xb5ac, -v47
	v_mov_b32_e32 v61, 0x394e
	v_add_f16_sdwa v29, v29, v0 dst_sel:DWORD dst_unused:UNUSED_PAD src0_sel:DWORD src1_sel:WORD_1
	v_fmac_f16_e32 v11, 0xb5ac, v14
	v_add_f16_e32 v27, v27, v0
	v_add_f16_e32 v35, v42, v35
	v_mul_f16_sdwa v42, v39, v44 dst_sel:DWORD dst_unused:UNUSED_PAD src0_sel:WORD_1 src1_sel:DWORD
	v_mul_f16_sdwa v62, v39, v61 dst_sel:DWORD dst_unused:UNUSED_PAD src0_sel:WORD_1 src1_sel:DWORD
	v_add_f16_e32 v29, v47, v29
	v_mul_f16_e32 v47, 0xbb7b, v26
	v_add_f16_e32 v11, v11, v27
	v_fma_f16 v27, v14, 0xbbc4, -v42
	v_add_f16_e32 v36, v36, v0
	v_fma_f16 v63, v14, 0xb9fd, -v62
	v_add_f16_e32 v40, v40, v0
	v_fmamk_f16 v64, v19, 0xb5ac, v47
	v_fmac_f16_e32 v42, 0xbbc4, v14
	v_add_f16_e32 v32, v32, v0
	v_mul_f16_e32 v65, 0x394e, v39
	v_add_f16_e32 v27, v27, v36
	v_add_f16_e32 v36, v63, v40
	v_add_f16_sdwa v40, v64, v0 dst_sel:DWORD dst_unused:UNUSED_PAD src0_sel:DWORD src1_sel:WORD_1
	v_mul_f16_e32 v64, 0xb94e, v26
	v_fma_f16 v47, v19, 0xb5ac, -v47
	v_add_f16_e32 v32, v42, v32
	v_fmamk_f16 v42, v23, 0xb9fd, v65
	v_fmac_f16_e32 v62, 0xb9fd, v14
	v_mov_b32_e32 v63, 0x3bf1
	v_add_f16_e32 v37, v37, v0
	v_fma_f16 v65, v23, 0xb9fd, -v65
	v_fmamk_f16 v67, v19, 0xb9fd, v64
	v_mul_f16_e32 v68, 0x3bf1, v39
	v_add_f16_sdwa v47, v47, v0 dst_sel:DWORD dst_unused:UNUSED_PAD src0_sel:DWORD src1_sel:WORD_1
	v_mul_f16_sdwa v66, v39, v63 dst_sel:DWORD dst_unused:UNUSED_PAD src0_sel:WORD_1 src1_sel:DWORD
	v_add_f16_e32 v40, v42, v40
	v_add_f16_sdwa v67, v67, v0 dst_sel:DWORD dst_unused:UNUSED_PAD src0_sel:DWORD src1_sel:WORD_1
	v_fmamk_f16 v70, v23, 0x2fb7, v68
	v_add_f16_e32 v37, v62, v37
	v_add_f16_e32 v42, v65, v47
	v_fma_f16 v62, v19, 0xb9fd, -v64
	v_mul_f16_e32 v26, 0xb3a8, v26
	v_pk_mul_f16 v65, 0x3770b3a8, v39
	v_fma_f16 v69, v14, 0x2fb7, -v66
	v_add_f16_e32 v47, v70, v67
	v_fmac_f16_e32 v66, 0x2fb7, v14
	v_add_f16_e32 v38, v38, v0
	v_fma_f16 v64, v23, 0x2fb7, -v68
	v_add_f16_sdwa v62, v62, v0 dst_sel:DWORD dst_unused:UNUSED_PAD src0_sel:DWORD src1_sel:WORD_1
	v_pk_add_f16 v25, v25, v0
	v_fma_f16 v67, v19, 0xbbc4, -v26
	v_mul_f16_e32 v68, 0x3770, v39
	v_pk_fma_f16 v39, 0xbbc43b15, v14, v65 op_sel:[0,0,1] op_sel_hi:[1,1,0] neg_lo:[0,0,1] neg_hi:[0,0,1]
	v_add_f16_e32 v38, v66, v38
	v_add_f16_e32 v62, v64, v62
	v_add_f16_sdwa v64, v67, v0 dst_sel:DWORD dst_unused:UNUSED_PAD src0_sel:DWORD src1_sel:WORD_1
	v_fma_f16 v66, v23, 0x3b15, -v68
	v_pk_add_f16 v25, v39, v25
	v_fmac_f16_e32 v46, 0x2fb7, v18
	v_mul_f16_sdwa v39, v43, v44 dst_sel:DWORD dst_unused:UNUSED_PAD src0_sel:WORD_1 src1_sel:DWORD
	v_fma_f16 v51, v50, 0x2fb7, -v51
	v_add_f16_e32 v64, v66, v64
	v_mul_f16_e32 v66, 0xb3a8, v43
	v_add_f16_e32 v28, v46, v28
	v_fma_f16 v46, v18, 0xbbc4, -v39
	v_add_f16_e32 v30, v51, v30
	v_mov_b32_e32 v51, 0x3b7b
	v_add_f16_e32 v41, v41, v0
	v_fmamk_f16 v67, v50, 0xbbc4, v66
	v_fmac_f16_e32 v39, 0xbbc4, v18
	v_add_f16_e32 v31, v46, v31
	v_mov_b32_e32 v46, 0x3770
	v_mul_f16_sdwa v51, v43, v51 dst_sel:DWORD dst_unused:UNUSED_PAD src0_sel:WORD_1 src1_sel:DWORD
	v_add_f16_e32 v41, v69, v41
	v_add_f16_e32 v35, v67, v35
	;; [unrolled: 1-line block ×3, first 2 shown]
	v_fma_f16 v39, v50, 0xbbc4, -v66
	v_mul_f16_sdwa v66, v43, v46 dst_sel:DWORD dst_unused:UNUSED_PAD src0_sel:WORD_1 src1_sel:DWORD
	v_fma_f16 v67, v18, 0xb5ac, -v51
	v_fmac_f16_e32 v51, 0xb5ac, v18
	v_mul_f16_e32 v69, 0x3770, v43
	v_add_f16_e32 v29, v39, v29
	v_fma_f16 v39, v18, 0x3b15, -v66
	v_add_f16_e32 v27, v67, v27
	v_add_f16_e32 v32, v51, v32
	v_fmamk_f16 v51, v50, 0x3b15, v69
	v_mul_f16_sdwa v67, v43, v17 dst_sel:DWORD dst_unused:UNUSED_PAD src0_sel:WORD_1 src1_sel:DWORD
	v_add_f16_e32 v36, v39, v36
	v_fmac_f16_e32 v66, 0x3b15, v18
	v_fma_f16 v39, v50, 0x3b15, -v69
	v_add_f16_e32 v40, v51, v40
	v_fma_f16 v51, v18, 0x388b, -v67
	v_mul_f16_e32 v69, 0xba95, v43
	v_add_f16_e32 v37, v66, v37
	v_add_f16_e32 v39, v39, v42
	v_pk_mul_f16 v42, 0xb94e3b7b, v43
	v_add_f16_e32 v41, v51, v41
	v_fmamk_f16 v51, v50, 0x388b, v69
	v_fma_f16 v66, v50, 0x388b, -v69
	v_mul_f16_e32 v43, 0xb94e, v43
	v_mul_f16_sdwa v61, v49, v61 dst_sel:DWORD dst_unused:UNUSED_PAD src0_sel:WORD_1 src1_sel:DWORD
	v_fmac_f16_e32 v52, 0xb5ac, v1
	v_add_f16_e32 v47, v51, v47
	v_add_f16_e32 v51, v66, v62
	v_fma_f16 v62, v50, 0xb9fd, -v43
	v_fma_f16 v55, v54, 0xb5ac, -v55
	v_mul_f16_e32 v66, 0x394e, v49
	v_add_f16_e32 v28, v52, v28
	v_mul_f16_sdwa v24, v49, v24 dst_sel:DWORD dst_unused:UNUSED_PAD src0_sel:WORD_1 src1_sel:DWORD
	v_add_f16_e32 v62, v62, v64
	v_fma_f16 v64, v1, 0xb9fd, -v61
	v_add_f16_e32 v30, v55, v30
	v_fmamk_f16 v52, v54, 0xb9fd, v66
	v_fmac_f16_e32 v61, 0xb9fd, v1
	v_fma_f16 v55, v54, 0xb9fd, -v66
	v_add_f16_e32 v31, v64, v31
	v_mul_f16_sdwa v64, v49, v46 dst_sel:DWORD dst_unused:UNUSED_PAD src0_sel:WORD_1 src1_sel:DWORD
	v_add_f16_e32 v35, v52, v35
	v_add_f16_e32 v11, v61, v11
	;; [unrolled: 1-line block ×3, first 2 shown]
	v_mul_f16_e32 v55, 0xbbf1, v49
	v_fma_f16 v52, v1, 0x3b15, -v64
	v_fmac_f16_e32 v64, 0x3b15, v1
	v_fma_f16 v61, v1, 0x2fb7, -v24
	v_mov_b32_e32 v66, 0x33a8
	v_fmac_f16_e32 v67, 0x388b, v18
	v_add_f16_e32 v27, v52, v27
	v_fmamk_f16 v52, v54, 0x2fb7, v55
	v_add_f16_e32 v32, v64, v32
	v_add_f16_e32 v36, v61, v36
	v_mul_f16_sdwa v61, v49, v66 dst_sel:DWORD dst_unused:UNUSED_PAD src0_sel:WORD_1 src1_sel:DWORD
	v_mul_f16_e32 v64, 0x33a8, v49
	v_add_f16_e32 v38, v67, v38
	v_add_f16_e32 v40, v52, v40
	v_fmac_f16_e32 v24, 0x2fb7, v1
	v_fma_f16 v52, v54, 0x2fb7, -v55
	v_fma_f16 v55, v1, 0xbbc4, -v61
	v_fmamk_f16 v67, v54, 0xbbc4, v64
	v_fmac_f16_e32 v61, 0xbbc4, v1
	v_add_f16_e32 v24, v24, v37
	v_add_f16_e32 v37, v52, v39
	;; [unrolled: 1-line block ×4, first 2 shown]
	v_fma_f16 v47, v54, 0xbbc4, -v64
	v_mul_f16_e32 v64, 0x3b15, v19
	v_alignbit_b32 v52, s0, v8, 16
	v_perm_b32 v21, v2, v21, 0x5040100
	v_pk_fma_f16 v69, 0xb5acb9fd, v18, v42 op_sel:[0,0,1] op_sel_hi:[1,1,0] neg_lo:[0,0,1] neg_hi:[0,0,1]
	v_add_f16_e32 v38, v61, v38
	v_pack_b32_f16 v8, v64, v8
	v_alignbit_b32 v55, s0, v2, 16
	v_pk_mul_f16 v61, 0x3a953770, v49
	v_alignbit_b32 v22, v22, v2, 16
	v_fmamk_f16 v19, v19, 0xbbc4, v26
	v_pk_add_f16 v8, v21, v8
	v_alignbit_b32 v26, v3, v0, 16
	v_pk_add_f16 v25, v69, v25
	v_add_f16_e32 v47, v47, v51
	v_pk_add_f16 v51, v52, v55
	v_pk_fma_f16 v52, 0x3b15388b, v1, v61 op_sel:[0,0,1] op_sel_hi:[1,1,0] neg_lo:[0,0,1] neg_hi:[0,0,1]
	v_pk_add_f16 v20, v20, v22 neg_lo:[0,1] neg_hi:[0,1]
	v_pk_add_f16 v8, v8, v26
	v_mul_f16_e32 v49, 0x3a95, v49
	v_mul_f16_sdwa v17, v53, v17 dst_sel:DWORD dst_unused:UNUSED_PAD src0_sel:WORD_1 src1_sel:DWORD
	v_pk_add_f16 v22, v52, v25
	v_bfi_b32 v20, 0xffff, v51, v20
	v_alignbit_b32 v25, v0, v3, 16
	v_pk_add_f16 v6, v6, v8
	v_fma_f16 v21, v54, 0x388b, -v49
	v_pk_add_f16 v51, v3, v2
	v_pk_add_f16 v2, v2, v3 neg_lo:[0,1] neg_hi:[0,1]
	v_pk_add_f16 v20, v25, v20
	v_pk_add_f16 v6, v7, v6
	v_add_f16_e32 v3, v21, v62
	v_mul_f16_sdwa v21, v53, v63 dst_sel:DWORD dst_unused:UNUSED_PAD src0_sel:WORD_1 src1_sel:DWORD
	v_mul_f16_e32 v25, 0x3b15, v23
	v_pk_add_f16 v20, v45, v20
	v_mul_f16_e32 v45, 0x3bf1, v53
	v_pk_add_f16 v4, v4, v6
	v_fmac_f16_e32 v56, 0xb9fd, v10
	v_fma_f16 v23, v9, 0xb9fd, -v60
	v_fma_f16 v8, v10, 0x2fb7, -v21
	v_pk_add_f16 v20, v48, v20
	v_fmamk_f16 v48, v9, 0x2fb7, v45
	v_fmac_f16_e32 v21, 0x2fb7, v10
	v_fma_f16 v45, v9, 0x2fb7, -v45
	v_fma_f16 v7, v10, 0x388b, -v17
	v_mul_f16_sdwa v52, v53, v66 dst_sel:DWORD dst_unused:UNUSED_PAD src0_sel:WORD_1 src1_sel:DWORD
	v_pk_add_f16 v4, v5, v4
	v_mul_f16_sdwa v5, v53, v46 dst_sel:DWORD dst_unused:UNUSED_PAD src0_sel:WORD_1 src1_sel:DWORD
	v_mul_f16_e32 v26, 0xb9fd, v50
	v_mul_f16_e32 v50, 0x388b, v54
	v_pk_add_f16 v20, v57, v20
	v_mul_f16_e32 v54, 0x33a8, v53
	v_fmac_f16_e32 v17, 0x388b, v10
	v_fma_f16 v6, v10, 0xbbc4, -v52
	v_add_f16_e32 v28, v56, v28
	v_mul_f16_e32 v56, 0x3770, v53
	v_add_f16_e32 v30, v23, v30
	v_fma_f16 v23, v10, 0x3b15, -v5
	v_fmac_f16_e32 v5, 0x3b15, v10
	v_add_f16_e32 v11, v21, v11
	v_mul_f16_e32 v57, 0xbb7b, v53
	v_mul_f16_sdwa v21, v2, v44 dst_sel:DWORD dst_unused:UNUSED_PAD src0_sel:WORD_1 src1_sel:DWORD
	v_add_f16_e32 v29, v45, v29
	v_lshrrev_b32_e32 v45, 16, v51
	v_add_f16_e32 v7, v7, v27
	v_mul_f16_e32 v27, 0xb3a8, v2
	v_pk_mul_f16 v53, 0xbb7bba95, v53
	v_add_f16_e32 v17, v17, v32
	v_fma_f16 v32, v51, 0xbbc4, -v21
	v_add_f16_e32 v6, v6, v36
	v_fmamk_f16 v36, v45, 0xbbc4, v27
	v_add_f16_e32 v5, v5, v38
	v_pk_fma_f16 v38, 0x388bb5ac, v10, v53 op_sel:[0,0,1] op_sel_hi:[1,1,0] neg_lo:[0,0,1] neg_hi:[0,0,1]
	v_mul_f16_sdwa v60, v2, v13 dst_sel:DWORD dst_unused:UNUSED_PAD src0_sel:WORD_1 src1_sel:DWORD
	v_pk_mul_f16 v13, 0xbbc43b15, v14
	v_fmamk_f16 v55, v9, 0xbbc4, v54
	v_fma_f16 v54, v9, 0xbbc4, -v54
	v_pk_add_f16 v38, v38, v22
	v_alignbit_b32 v22, v32, v12, 16
	v_perm_b32 v12, v12, v36, 0x5040100
	v_add_f16_e32 v8, v8, v31
	v_fmamk_f16 v31, v9, 0x3b15, v56
	v_fma_f16 v56, v9, 0x3b15, -v56
	v_add_f16_e32 v35, v48, v35
	v_mul_f16_e32 v48, 0xb5ac, v9
	v_fma_f16 v9, v9, 0xb5ac, -v57
	v_pk_mul_f16 v18, 0xb5acb9fd, v18
	v_pk_add_f16 v14, v12, v4
	v_add_f16_sdwa v4, v65, v13 dst_sel:DWORD dst_unused:UNUSED_PAD src0_sel:DWORD src1_sel:WORD_1
	v_add_f16_sdwa v12, v58, v0 dst_sel:DWORD dst_unused:UNUSED_PAD src0_sel:WORD_1 src1_sel:WORD_1
	v_fmac_f16_e32 v52, 0xbbc4, v10
	v_mul_f16_sdwa v44, v2, v46 dst_sel:DWORD dst_unused:UNUSED_PAD src0_sel:WORD_1 src1_sel:DWORD
	v_add_f16_e32 v40, v55, v40
	v_fma_f16 v27, v45, 0xbbc4, -v27
	v_add_f16_e32 v55, v23, v39
	v_mov_b32_e32 v23, 0x3a95
	v_add_f16_e32 v3, v9, v3
	v_mul_f16_e32 v9, 0xbb7b, v2
	v_add_f16_e32 v4, v4, v12
	v_add_f16_sdwa v12, v42, v18 dst_sel:DWORD dst_unused:UNUSED_PAD src0_sel:DWORD src1_sel:WORD_1
	v_pk_mul_f16 v1, 0x3b15388b, v1
	v_pk_add_f16 v20, v59, v20
	v_add_f16_e32 v52, v52, v24
	v_fma_f16 v24, v51, 0x3b15, -v44
	v_fmac_f16_e32 v44, 0x3b15, v51
	v_mul_f16_sdwa v59, v2, v23 dst_sel:DWORD dst_unused:UNUSED_PAD src0_sel:WORD_1 src1_sel:DWORD
	v_mul_f16_e32 v23, 0x3a95, v2
	v_add_f16_e32 v39, v27, v30
	v_fmamk_f16 v27, v45, 0xb5ac, v9
	v_fma_f16 v30, v45, 0xb5ac, -v9
	v_pk_mul_f16 v62, 0x388bb5ac, v10
	v_add_f16_e32 v4, v12, v4
	v_add_f16_sdwa v9, v61, v1 dst_sel:DWORD dst_unused:UNUSED_PAD src0_sel:DWORD src1_sel:WORD_1
	v_mul_f16_sdwa v15, v2, v15 dst_sel:DWORD dst_unused:UNUSED_PAD src0_sel:WORD_1 src1_sel:DWORD
	v_fmamk_f16 v32, v45, 0x388b, v23
	v_fma_f16 v36, v45, 0x388b, -v23
	v_pk_add_f16 v23, v22, v20
	v_add_f16_e32 v20, v44, v11
	v_pk_mul_f16 v11, 0xb9fd2fb7, v51
	v_add_f16_e32 v4, v9, v4
	v_pk_mul_f16 v12, 0x3bf1b94e, v2
	v_pack_b32_f16 v9, v68, v58
	v_add_f16_sdwa v10, v53, v62 dst_sel:DWORD dst_unused:UNUSED_PAD src0_sel:DWORD src1_sel:WORD_1
	v_perm_b32 v25, v0, v25, 0x5040100
	v_pack_b32_f16 v13, v19, v13
	v_perm_b32 v0, v65, v0, 0x7060302
	v_add_f16_e32 v41, v31, v41
	v_fma_f16 v31, v51, 0xb9fd, -v15
	v_add_f16_e32 v4, v10, v4
	v_add_f16_sdwa v10, v12, v11 dst_sel:DWORD dst_unused:UNUSED_PAD src0_sel:DWORD src1_sel:WORD_1
	v_pk_add_f16 v19, v9, v25
	v_pk_add_f16 v0, v13, v0
	v_pack_b32_f16 v13, v43, v18
	v_bfi_b32 v18, 0xffff, v26, v42
	v_add_f16_e32 v47, v56, v47
	v_fma_f16 v56, v51, 0x388b, -v59
	v_add_f16_e32 v9, v31, v7
	v_add_f16_e32 v26, v10, v4
	v_pk_add_f16 v0, v0, v19
	v_pk_add_f16 v4, v13, v18
	v_pack_b32_f16 v1, v49, v1
	v_bfi_b32 v7, 0xffff, v50, v61
	s_load_dwordx2 s[2:3], s[4:5], 0x8
	v_mul_f16_e32 v46, 0x3770, v2
	v_add_f16_e32 v10, v56, v6
	v_pk_add_f16 v0, v4, v0
	v_pk_add_f16 v1, v1, v7
	v_pack_b32_f16 v4, v57, v62
	v_bfi_b32 v6, 0xffff, v48, v53
	v_mul_f16_e32 v2, 0x3bf1, v2
	v_mul_f16_e32 v7, 0x2fb7, v45
	v_fmac_f16_e32 v21, 0xbbc4, v51
	v_fmac_f16_e32 v15, 0xb9fd, v51
	v_pk_add_f16 v0, v1, v0
	v_pk_add_f16 v1, v4, v6
	v_pack_b32_f16 v4, v2, v11
	v_bfi_b32 v6, 0xffff, v7, v12
	v_add_f16_e32 v37, v54, v37
	v_fmamk_f16 v54, v45, 0x3b15, v46
	v_fma_f16 v46, v45, 0x3b15, -v46
	v_fmac_f16_e32 v59, 0x388b, v51
	v_add_f16_e32 v21, v21, v28
	v_fma_f16 v28, v51, 0xb5ac, -v60
	v_fmac_f16_e32 v60, 0xb5ac, v51
	v_add_f16_e32 v25, v15, v17
	v_pk_fma_f16 v15, 0xb9fd2fb7, v51, v12 op_sel:[0,0,1] op_sel_hi:[1,1,0] neg_lo:[0,0,1] neg_hi:[0,0,1]
	v_pk_add_f16 v0, v1, v0
	v_pk_add_f16 v1, v4, v6
	v_fma_f16 v2, v45, 0x2fb7, -v2
	v_add_f16_e32 v8, v24, v8
	v_add_f16_e32 v24, v54, v35
	;; [unrolled: 1-line block ×10, first 2 shown]
	v_pk_add_f16 v48, v15, v38
	v_pk_add_f16 v47, v1, v0
	v_add_f16_e32 v54, v2, v3
	v_mul_lo_u16 v37, v34, 13
	s_waitcnt lgkmcnt(0)
	s_barrier
	buffer_gl0_inv
	s_and_saveexec_b32 s0, vcc_lo
	s_cbranch_execz .LBB0_7
; %bb.6:
	v_mov_b32_e32 v0, 2
	v_alignbit_b32 v1, v14, v23, 16
	v_alignbit_b32 v2, v23, v14, 16
	v_perm_b32 v3, v26, v9, 0x5040100
	v_perm_b32 v4, v24, v8, 0x5040100
	v_lshlrev_b32_sdwa v0, v0, v37 dst_sel:DWORD dst_unused:UNUSED_PAD src0_sel:DWORD src1_sel:WORD_0
	v_perm_b32 v5, v44, v11, 0x5040100
	v_perm_b32 v6, v31, v10, 0x5040100
	;; [unrolled: 1-line block ×3, first 2 shown]
	v_bfi_b32 v15, 0xffff, v25, v48
	ds_write2_b32 v0, v2, v1 offset1:1
	ds_write2_b32 v0, v4, v3 offset0:2 offset1:3
	v_alignbit_b32 v1, v54, v47, 16
	v_perm_b32 v2, v40, v13, 0x5040100
	v_perm_b32 v3, v41, v12, 0x5040100
	;; [unrolled: 1-line block ×4, first 2 shown]
	ds_write2_b32 v0, v6, v5 offset0:4 offset1:5
	ds_write2_b32 v0, v7, v1 offset0:6 offset1:7
	;; [unrolled: 1-line block ×4, first 2 shown]
	ds_write_b32 v0, v17 offset:48
.LBB0_7:
	s_or_b32 exec_lo, exec_lo, s0
	s_load_dwordx2 s[4:5], s[4:5], 0x20
	v_cmp_gt_u16_e64 s0, 0x82, v34
	v_lshrrev_b32_e32 v15, 16, v23
	v_lshrrev_b32_e32 v19, 16, v47
	s_waitcnt lgkmcnt(0)
	s_barrier
	buffer_gl0_inv
	s_and_saveexec_b32 s1, s0
	s_cbranch_execz .LBB0_9
; %bb.8:
	v_add_nc_u32_e32 v0, 0x400, v33
	v_add_nc_u32_e32 v1, 0x800, v33
	;; [unrolled: 1-line block ×3, first 2 shown]
	ds_read2_b32 v[14:15], v33 offset1:130
	ds_read2_b32 v[8:9], v0 offset0:4 offset1:134
	v_add_nc_u32_e32 v0, 0x1000, v33
	ds_read2_b32 v[10:11], v1 offset0:8 offset1:138
	ds_read2_b32 v[18:19], v2 offset0:12 offset1:142
	;; [unrolled: 1-line block ×3, first 2 shown]
	ds_read_b32 v25, v33 offset:5200
	s_waitcnt lgkmcnt(5)
	v_lshrrev_b32_e32 v23, 16, v14
	v_alignbit_b32 v14, v14, v15, 16
	s_waitcnt lgkmcnt(4)
	v_lshrrev_b32_e32 v24, 16, v8
	v_lshrrev_b32_e32 v26, 16, v9
	s_waitcnt lgkmcnt(3)
	v_lshrrev_b32_e32 v31, 16, v10
	v_lshrrev_b32_e32 v44, 16, v11
	;; [unrolled: 3-line block ×4, first 2 shown]
	s_waitcnt lgkmcnt(0)
	v_bfi_b32 v48, 0xffff, v18, v25
.LBB0_9:
	s_or_b32 exec_lo, exec_lo, s1
	v_and_b32_e32 v0, 0xff, v34
	v_lshrrev_b32_e32 v55, 16, v48
	v_mul_lo_u16 v0, 0x4f, v0
	v_lshrrev_b16 v36, 10, v0
	v_mul_lo_u16 v0, v36, 13
	v_sub_nc_u16 v0, v34, v0
	v_and_b32_e32 v35, 0xff, v0
	v_mul_u32_u24_e32 v0, 10, v35
	v_lshlrev_b32_e32 v17, 2, v0
	s_clause 0x2
	global_load_dwordx4 v[4:7], v17, s[2:3]
	global_load_dwordx4 v[0:3], v17, s[2:3] offset:16
	global_load_dwordx2 v[17:18], v17, s[2:3] offset:32
	s_waitcnt vmcnt(0)
	s_barrier
	buffer_gl0_inv
	v_mul_f16_sdwa v49, v14, v4 dst_sel:DWORD dst_unused:UNUSED_PAD src0_sel:DWORD src1_sel:WORD_1
	v_mul_f16_sdwa v46, v15, v4 dst_sel:DWORD dst_unused:UNUSED_PAD src0_sel:DWORD src1_sel:WORD_1
	v_mul_f16_sdwa v42, v10, v7 dst_sel:DWORD dst_unused:UNUSED_PAD src0_sel:DWORD src1_sel:WORD_1
	v_mul_f16_sdwa v62, v55, v18 dst_sel:DWORD dst_unused:UNUSED_PAD src0_sel:DWORD src1_sel:WORD_1
	v_mul_f16_sdwa v27, v25, v18 dst_sel:DWORD dst_unused:UNUSED_PAD src0_sel:DWORD src1_sel:WORD_1
	v_mul_f16_sdwa v50, v24, v5 dst_sel:DWORD dst_unused:UNUSED_PAD src0_sel:DWORD src1_sel:WORD_1
	v_mul_f16_sdwa v45, v8, v5 dst_sel:DWORD dst_unused:UNUSED_PAD src0_sel:DWORD src1_sel:WORD_1
	v_mul_f16_sdwa v56, v31, v7 dst_sel:DWORD dst_unused:UNUSED_PAD src0_sel:DWORD src1_sel:WORD_1
	v_mul_f16_sdwa v29, v12, v3 dst_sel:DWORD dst_unused:UNUSED_PAD src0_sel:DWORD src1_sel:WORD_1
	v_mul_f16_sdwa v61, v40, v17 dst_sel:DWORD dst_unused:UNUSED_PAD src0_sel:DWORD src1_sel:WORD_1
	v_mul_f16_sdwa v28, v13, v17 dst_sel:DWORD dst_unused:UNUSED_PAD src0_sel:DWORD src1_sel:WORD_1
	v_fma_f16 v53, v15, v4, -v49
	v_fmac_f16_e32 v46, v14, v4
	v_fmac_f16_e32 v42, v31, v7
	v_fma_f16 v31, v25, v18, -v62
	v_fmac_f16_e32 v27, v55, v18
	v_mul_f16_sdwa v51, v26, v6 dst_sel:DWORD dst_unused:UNUSED_PAD src0_sel:DWORD src1_sel:WORD_1
	v_mul_f16_sdwa v43, v9, v6 dst_sel:DWORD dst_unused:UNUSED_PAD src0_sel:DWORD src1_sel:WORD_1
	;; [unrolled: 1-line block ×6, first 2 shown]
	v_fma_f16 v52, v8, v5, -v50
	v_fmac_f16_e32 v45, v24, v5
	v_fmac_f16_e32 v29, v41, v3
	v_fma_f16 v41, v13, v17, -v61
	v_fmac_f16_e32 v28, v40, v17
	v_sub_f16_e32 v70, v53, v31
	v_sub_f16_e32 v64, v46, v27
	v_mul_f16_sdwa v57, v44, v0 dst_sel:DWORD dst_unused:UNUSED_PAD src0_sel:DWORD src1_sel:WORD_1
	v_mul_f16_sdwa v58, v47, v1 dst_sel:DWORD dst_unused:UNUSED_PAD src0_sel:DWORD src1_sel:WORD_1
	;; [unrolled: 1-line block ×3, first 2 shown]
	v_fma_f16 v51, v9, v6, -v51
	v_fmac_f16_e32 v43, v26, v6
	v_fmac_f16_e32 v38, v44, v0
	;; [unrolled: 1-line block ×3, first 2 shown]
	v_fma_f16 v47, v19, v2, -v59
	v_fma_f16 v44, v12, v3, -v60
	v_add_f16_e32 v8, v53, v31
	v_add_f16_e32 v26, v46, v27
	v_sub_f16_e32 v72, v52, v41
	v_sub_f16_e32 v65, v45, v28
	v_mul_f16_e32 v59, 0xb853, v64
	v_mul_f16_e32 v68, 0xb853, v70
	v_fma_f16 v50, v10, v7, -v56
	v_fmac_f16_e32 v30, v54, v2
	v_add_f16_e32 v9, v52, v41
	v_add_f16_e32 v15, v45, v28
	v_sub_f16_e32 v73, v51, v44
	v_sub_f16_e32 v67, v43, v29
	v_mul_f16_e32 v60, 0xbb47, v65
	v_mul_f16_e32 v66, 0xbb47, v72
	v_fmamk_f16 v19, v8, 0x3abb, v59
	v_fma_f16 v40, v26, 0x3abb, -v68
	v_fma_f16 v49, v11, v0, -v57
	;; [unrolled: 1-line block ×3, first 2 shown]
	v_add_f16_e32 v11, v51, v44
	v_add_f16_e32 v25, v43, v29
	v_sub_f16_e32 v71, v50, v47
	v_sub_f16_e32 v62, v42, v30
	v_mul_f16_e32 v57, 0xbbeb, v67
	v_mul_f16_e32 v63, 0xbbeb, v73
	v_fmamk_f16 v56, v9, 0x36a6, v60
	v_fma_f16 v74, v15, 0x36a6, -v66
	v_add_f16_sdwa v19, v14, v19 dst_sel:DWORD dst_unused:UNUSED_PAD src0_sel:WORD_1 src1_sel:DWORD
	v_add_f16_e32 v40, v23, v40
	v_add_f16_e32 v10, v50, v47
	;; [unrolled: 1-line block ×3, first 2 shown]
	v_sub_f16_e32 v69, v49, v48
	v_sub_f16_e32 v58, v38, v32
	v_mul_f16_e32 v54, 0xba0c, v62
	v_mul_f16_e32 v61, 0xba0c, v71
	v_fmamk_f16 v75, v11, 0xb08e, v57
	v_fma_f16 v76, v25, 0xb08e, -v63
	v_add_f16_e32 v19, v56, v19
	v_add_f16_e32 v40, v74, v40
	;; [unrolled: 1-line block ×4, first 2 shown]
	v_mul_f16_e32 v55, 0xb482, v58
	v_mul_f16_e32 v56, 0xb482, v69
	v_fmamk_f16 v74, v10, 0xb93d, v54
	v_fma_f16 v77, v12, 0xb93d, -v61
	v_add_f16_e32 v19, v75, v19
	v_add_f16_e32 v40, v76, v40
	v_fmamk_f16 v75, v13, 0xbbad, v55
	v_fma_f16 v76, v24, 0xbbad, -v56
	v_add_f16_e32 v19, v74, v19
	v_add_f16_e32 v40, v77, v40
	;; [unrolled: 1-line block ×4, first 2 shown]
	s_and_saveexec_b32 s1, s0
	s_cbranch_execz .LBB0_11
; %bb.10:
	v_mul_f16_e32 v74, 0xbbad, v26
	v_mul_f16_e32 v75, 0x3abb, v15
	;; [unrolled: 1-line block ×5, first 2 shown]
	v_fmamk_f16 v79, v70, 0x3482, v74
	v_fmac_f16_e32 v74, 0xb482, v70
	v_fmamk_f16 v83, v72, 0xb853, v75
	v_fmac_f16_e32 v75, 0x3853, v72
	v_mul_f16_e32 v81, 0x3853, v65
	v_add_f16_e32 v79, v23, v79
	v_add_f16_e32 v74, v23, v74
	v_fmamk_f16 v85, v73, 0x3a0c, v76
	v_fmamk_f16 v87, v8, 0xbbad, v80
	v_fmac_f16_e32 v76, 0xba0c, v73
	v_add_f16_e32 v79, v83, v79
	v_add_f16_e32 v74, v75, v74
	v_mul_f16_e32 v78, 0xb08e, v24
	v_mul_f16_e32 v82, 0xba0c, v67
	v_fmamk_f16 v86, v71, 0xbb47, v77
	v_fmamk_f16 v88, v9, 0x3abb, v81
	v_add_f16_sdwa v87, v14, v87 dst_sel:DWORD dst_unused:UNUSED_PAD src0_sel:WORD_1 src1_sel:DWORD
	v_add_f16_e32 v79, v85, v79
	v_fma_f16 v80, v8, 0xbbad, -v80
	v_add_f16_e32 v74, v76, v74
	v_fmac_f16_e32 v77, 0x3b47, v71
	v_mul_f16_e32 v84, 0x3b47, v62
	v_fmamk_f16 v83, v69, 0x3beb, v78
	v_fmamk_f16 v85, v11, 0xb93d, v82
	v_add_f16_e32 v87, v88, v87
	v_add_f16_e32 v79, v86, v79
	v_add_f16_sdwa v80, v14, v80 dst_sel:DWORD dst_unused:UNUSED_PAD src0_sel:WORD_1 src1_sel:DWORD
	v_fma_f16 v81, v9, 0x3abb, -v81
	v_add_f16_e32 v74, v77, v74
	v_fmac_f16_e32 v78, 0xbbeb, v69
	v_add_f16_e32 v75, v85, v87
	v_add_f16_e32 v79, v83, v79
	v_fmamk_f16 v83, v10, 0x36a6, v84
	v_mul_f16_e32 v85, 0xbbeb, v58
	v_add_f16_e32 v76, v81, v80
	v_fma_f16 v80, v11, 0xb93d, -v82
	v_add_f16_e32 v74, v78, v74
	v_mul_f16_e32 v78, 0xba0c, v64
	v_add_f16_e32 v75, v83, v75
	v_fmamk_f16 v81, v13, 0xb08e, v85
	v_add_f16_e32 v76, v80, v76
	v_fma_f16 v77, v10, 0x36a6, -v84
	v_mul_f16_e32 v80, 0xba0c, v70
	v_fma_f16 v83, v8, 0xb93d, -v78
	v_mul_f16_e32 v84, 0x3beb, v65
	v_add_f16_e32 v75, v81, v75
	v_add_f16_e32 v76, v77, v76
	v_fmamk_f16 v77, v26, 0xb93d, v80
	v_mul_f16_e32 v81, 0x3beb, v72
	v_add_f16_sdwa v83, v14, v83 dst_sel:DWORD dst_unused:UNUSED_PAD src0_sel:WORD_1 src1_sel:DWORD
	v_fma_f16 v87, v9, 0xb08e, -v84
	v_mul_f16_e32 v88, 0xb853, v67
	v_fma_f16 v82, v13, 0xb08e, -v85
	v_add_f16_e32 v77, v23, v77
	v_fmamk_f16 v85, v15, 0xb08e, v81
	v_mul_f16_e32 v86, 0xb853, v73
	v_add_f16_e32 v83, v87, v83
	v_fma_f16 v87, v11, 0x3abb, -v88
	v_mul_f16_e32 v91, 0xbbeb, v70
	v_add_f16_e32 v77, v85, v77
	v_fmamk_f16 v85, v25, 0x3abb, v86
	v_mul_f16_e32 v89, 0xb482, v71
	v_add_f16_e32 v83, v87, v83
	v_fmamk_f16 v87, v26, 0xb08e, v91
	v_mul_f16_e32 v93, 0x3482, v72
	v_mul_f16_e32 v90, 0xb482, v62
	v_add_f16_e32 v77, v85, v77
	v_fmamk_f16 v85, v12, 0xbbad, v89
	v_mul_f16_e32 v92, 0x3b47, v69
	v_add_f16_e32 v76, v82, v76
	v_add_f16_e32 v82, v23, v87
	v_fmamk_f16 v87, v15, 0xbbad, v93
	v_fma_f16 v94, v10, 0xbbad, -v90
	v_mul_f16_e32 v96, 0x3b47, v73
	v_add_f16_e32 v77, v85, v77
	v_fmamk_f16 v85, v24, 0x36a6, v92
	v_add_f16_e32 v82, v87, v82
	v_mul_f16_e32 v87, 0xbbeb, v64
	v_mul_f16_e32 v95, 0x3b47, v58
	v_add_f16_e32 v83, v94, v83
	v_fmamk_f16 v94, v25, 0x36a6, v96
	v_mul_f16_e32 v97, 0xb853, v71
	v_add_f16_e32 v77, v85, v77
	v_fma_f16 v85, v8, 0xb08e, -v87
	v_mul_f16_e32 v99, 0x3482, v65
	v_fma_f16 v98, v13, 0x36a6, -v95
	v_add_f16_e32 v82, v94, v82
	v_fmamk_f16 v94, v12, 0x3abb, v97
	v_add_f16_sdwa v85, v14, v85 dst_sel:DWORD dst_unused:UNUSED_PAD src0_sel:WORD_1 src1_sel:DWORD
	v_fma_f16 v101, v9, 0xbbad, -v99
	v_mul_f16_e32 v102, 0x3b47, v67
	v_mul_f16_e32 v70, 0xbb47, v70
	v_add_f16_e32 v83, v98, v83
	v_add_f16_e32 v82, v94, v82
	;; [unrolled: 1-line block ×3, first 2 shown]
	v_fma_f16 v94, v11, 0x36a6, -v102
	v_mul_f16_e32 v98, 0xb853, v62
	v_fmamk_f16 v101, v26, 0x36a6, v70
	v_mul_f16_e32 v72, 0xba0c, v72
	v_mul_f16_e32 v73, 0x3482, v73
	v_add_f16_e32 v85, v94, v85
	v_fma_f16 v94, v10, 0x3abb, -v98
	v_add_f16_e32 v101, v23, v101
	v_fmamk_f16 v104, v15, 0xb93d, v72
	v_mul_f16_e32 v64, 0xbb47, v64
	v_mul_f16_e32 v71, 0x3beb, v71
	v_add_f16_e32 v85, v94, v85
	v_mul_f16_e32 v65, 0xba0c, v65
	v_add_f16_e32 v94, v104, v101
	v_fmamk_f16 v101, v25, 0xbbad, v73
	v_fma_f16 v104, v8, 0x36a6, -v64
	v_mul_f16_e32 v67, 0x3482, v67
	v_fma_f16 v106, v9, 0xb93d, -v65
	v_add_f16_sdwa v53, v14, v53 dst_sel:DWORD dst_unused:UNUSED_PAD src0_sel:WORD_1 src1_sel:DWORD
	v_add_f16_e32 v94, v101, v94
	v_fmamk_f16 v101, v12, 0xb08e, v71
	v_add_f16_sdwa v104, v14, v104 dst_sel:DWORD dst_unused:UNUSED_PAD src0_sel:WORD_1 src1_sel:DWORD
	v_mul_f16_e32 v100, 0xba0c, v69
	v_mul_f16_e32 v69, 0x3853, v69
	;; [unrolled: 1-line block ×3, first 2 shown]
	v_add_f16_e32 v94, v101, v94
	v_mul_f16_e32 v101, 0x3abb, v26
	v_add_f16_e32 v104, v106, v104
	v_fma_f16 v106, v11, 0xbbad, -v67
	v_add_f16_e32 v52, v53, v52
	v_add_f16_e32 v46, v23, v46
	;; [unrolled: 1-line block ×3, first 2 shown]
	v_fmamk_f16 v101, v24, 0x3abb, v69
	v_add_f16_e32 v104, v106, v104
	v_add_f16_e32 v66, v66, v107
	v_mul_f16_e32 v106, 0xb08e, v25
	v_add_f16_e32 v68, v23, v68
	v_add_f16_e32 v51, v52, v51
	;; [unrolled: 1-line block ×6, first 2 shown]
	v_mul_f16_e32 v101, 0xb93d, v12
	v_add_f16_e32 v50, v51, v50
	v_add_f16_e32 v43, v45, v43
	v_fmamk_f16 v103, v24, 0xb93d, v100
	v_add_f16_e32 v63, v63, v66
	v_add_f16_e32 v61, v61, v101
	;; [unrolled: 1-line block ×4, first 2 shown]
	v_mul_f16_e32 v43, 0xbbad, v24
	v_mul_f16_e32 v62, 0x3beb, v62
	v_add_f16_e32 v45, v61, v63
	v_add_f16_e32 v48, v49, v48
	;; [unrolled: 1-line block ×5, first 2 shown]
	v_mul_f16_e32 v103, 0xba0c, v58
	v_add_f16_e32 v47, v48, v47
	v_add_f16_e32 v32, v38, v32
	;; [unrolled: 1-line block ×3, first 2 shown]
	v_fma_f16 v42, v26, 0xb93d, -v80
	v_fma_f16 v107, v10, 0xb08e, -v62
	v_add_f16_e32 v44, v47, v44
	v_add_f16_e32 v30, v32, v30
	v_fmac_f16_e32 v78, 0xb93d, v8
	v_add_f16_e32 v32, v23, v42
	v_fma_f16 v42, v15, 0xb08e, -v81
	v_fma_f16 v105, v13, 0xb93d, -v103
	v_add_f16_e32 v68, v107, v104
	v_mul_f16_e32 v104, 0x3abb, v8
	v_add_f16_e32 v41, v44, v41
	v_add_f16_e32 v29, v30, v29
	v_add_f16_sdwa v30, v14, v78 dst_sel:DWORD dst_unused:UNUSED_PAD src0_sel:WORD_1 src1_sel:DWORD
	v_fmac_f16_e32 v84, 0xb08e, v9
	v_add_f16_e32 v32, v42, v32
	v_fma_f16 v42, v25, 0x3abb, -v86
	v_add_f16_e32 v85, v105, v85
	v_mul_f16_e32 v105, 0x36a6, v9
	v_sub_f16_e32 v59, v104, v59
	v_mul_f16_e32 v53, 0x3853, v58
	v_add_f16_e32 v31, v41, v31
	v_add_f16_e32 v28, v29, v28
	v_add_f16_e32 v29, v84, v30
	v_fmac_f16_e32 v88, 0x3abb, v11
	v_add_f16_e32 v30, v42, v32
	v_fma_f16 v32, v12, 0xbbad, -v89
	v_fma_f16 v41, v26, 0xb08e, -v91
	v_sub_f16_e32 v60, v105, v60
	v_add_f16_sdwa v58, v14, v59 dst_sel:DWORD dst_unused:UNUSED_PAD src0_sel:WORD_1 src1_sel:DWORD
	v_mul_f16_e32 v59, 0xb08e, v11
	v_fma_f16 v52, v13, 0x3abb, -v53
	v_fma_f16 v26, v26, 0x36a6, -v70
	v_add_f16_e32 v27, v28, v27
	v_add_f16_e32 v28, v88, v29
	;; [unrolled: 1-line block ×4, first 2 shown]
	v_fma_f16 v41, v24, 0x36a6, -v92
	v_fmac_f16_e32 v87, 0xb08e, v8
	v_fmac_f16_e32 v64, 0x36a6, v8
	v_add_f16_e32 v46, v60, v58
	v_sub_f16_e32 v57, v59, v57
	v_add_f16_e32 v51, v52, v68
	v_mul_f16_e32 v52, 0xb93d, v10
	v_fma_f16 v32, v15, 0xbbad, -v93
	v_add_f16_e32 v23, v23, v26
	v_fma_f16 v15, v15, 0xb93d, -v72
	v_add_f16_e32 v29, v41, v29
	v_add_f16_sdwa v41, v14, v87 dst_sel:DWORD dst_unused:UNUSED_PAD src0_sel:WORD_1 src1_sel:DWORD
	v_fmac_f16_e32 v99, 0xbbad, v9
	v_add_f16_sdwa v14, v14, v64 dst_sel:DWORD dst_unused:UNUSED_PAD src0_sel:WORD_1 src1_sel:DWORD
	v_fmac_f16_e32 v65, 0xb93d, v9
	v_add_f16_e32 v46, v57, v46
	v_sub_f16_e32 v50, v52, v54
	v_mul_f16_e32 v52, 0xbbad, v13
	v_add_f16_e32 v9, v15, v23
	v_fma_f16 v15, v25, 0xbbad, -v73
	v_add_f16_e32 v30, v32, v30
	v_fma_f16 v32, v25, 0x36a6, -v96
	v_add_f16_e32 v41, v99, v41
	v_fmac_f16_e32 v102, 0x36a6, v11
	v_add_f16_e32 v14, v65, v14
	v_fmac_f16_e32 v67, 0xbbad, v11
	v_add_f16_e32 v43, v50, v46
	v_sub_f16_e32 v46, v52, v55
	v_add_f16_e32 v9, v15, v9
	v_mov_b32_e32 v15, 0x8f
	v_fmac_f16_e32 v90, 0xbbad, v10
	v_add_f16_e32 v30, v32, v30
	v_fma_f16 v32, v12, 0x3abb, -v97
	v_add_f16_e32 v26, v102, v41
	v_fmac_f16_e32 v98, 0x3abb, v10
	v_fma_f16 v12, v12, 0xb08e, -v71
	v_add_f16_e32 v14, v67, v14
	v_fmac_f16_e32 v62, 0xb08e, v10
	v_add_f16_e32 v43, v46, v43
	v_mul_u32_u24_sdwa v10, v36, v15 dst_sel:DWORD dst_unused:UNUSED_PAD src0_sel:WORD_0 src1_sel:DWORD
	v_add_f16_e32 v28, v90, v28
	v_fmac_f16_e32 v95, 0x36a6, v13
	v_add_f16_e32 v8, v32, v30
	v_fma_f16 v23, v24, 0xb93d, -v100
	v_add_f16_e32 v11, v98, v26
	v_fmac_f16_e32 v103, 0xb93d, v13
	v_add_f16_e32 v9, v12, v9
	v_fma_f16 v12, v24, 0x3abb, -v69
	v_add_f16_e32 v14, v62, v14
	v_fmac_f16_e32 v53, 0x3abb, v13
	v_add_lshl_u32 v10, v10, v35, 2
	v_pack_b32_f16 v13, v31, v27
	v_pack_b32_f16 v15, v43, v38
	v_add_f16_e32 v28, v95, v28
	v_add_f16_e32 v8, v23, v8
	;; [unrolled: 1-line block ×5, first 2 shown]
	ds_write2_b32 v10, v13, v15 offset1:13
	v_pack_b32_f16 v13, v51, v94
	v_pack_b32_f16 v14, v85, v82
	;; [unrolled: 1-line block ×8, first 2 shown]
	v_perm_b32 v11, v40, v19, 0x5040100
	ds_write2_b32 v10, v13, v14 offset0:26 offset1:39
	ds_write2_b32 v10, v15, v23 offset0:52 offset1:65
	;; [unrolled: 1-line block ×4, first 2 shown]
	ds_write_b32 v10, v11 offset:520
.LBB0_11:
	s_or_b32 exec_lo, exec_lo, s1
	v_mad_u64_u32 v[23:24], null, v34, 36, s[2:3]
	s_load_dwordx4 s[4:7], s[4:5], 0x0
	s_waitcnt lgkmcnt(0)
	s_barrier
	buffer_gl0_inv
	v_add_nc_u32_e32 v48, 0x400, v33
	v_add_nc_u32_e32 v49, 0x800, v33
	s_clause 0x2
	global_load_dwordx4 v[12:15], v[23:24], off offset:520
	global_load_dwordx4 v[8:11], v[23:24], off offset:536
	global_load_dword v38, v[23:24], off offset:552
	v_add_nc_u32_e32 v50, 0xc00, v33
	v_add_nc_u32_e32 v53, 0x1100, v33
	ds_read2_b32 v[29:30], v33 offset1:143
	ds_read2_b32 v[23:24], v48 offset0:30 offset1:173
	ds_read2_b32 v[25:26], v49 offset0:60 offset1:203
	ds_read2_b32 v[27:28], v50 offset0:90 offset1:233
	ds_read2_b32 v[31:32], v53 offset0:56 offset1:199
	s_waitcnt lgkmcnt(2)
	v_lshrrev_b32_e32 v44, 16, v25
	v_lshrrev_b32_e32 v41, 16, v30
	;; [unrolled: 1-line block ×5, first 2 shown]
	s_waitcnt lgkmcnt(1)
	v_lshrrev_b32_e32 v47, 16, v27
	v_lshrrev_b32_e32 v51, 16, v28
	s_waitcnt lgkmcnt(0)
	v_lshrrev_b32_e32 v52, 16, v31
	v_lshrrev_b32_e32 v54, 16, v32
	;; [unrolled: 1-line block ×3, first 2 shown]
	s_waitcnt vmcnt(2)
	v_mul_f16_sdwa v55, v41, v12 dst_sel:DWORD dst_unused:UNUSED_PAD src0_sel:DWORD src1_sel:WORD_1
	v_mul_f16_sdwa v56, v30, v12 dst_sel:DWORD dst_unused:UNUSED_PAD src0_sel:DWORD src1_sel:WORD_1
	;; [unrolled: 1-line block ×8, first 2 shown]
	s_waitcnt vmcnt(1)
	v_mul_f16_sdwa v63, v46, v8 dst_sel:DWORD dst_unused:UNUSED_PAD src0_sel:DWORD src1_sel:WORD_1
	v_mul_f16_sdwa v64, v26, v8 dst_sel:DWORD dst_unused:UNUSED_PAD src0_sel:DWORD src1_sel:WORD_1
	;; [unrolled: 1-line block ×8, first 2 shown]
	s_waitcnt vmcnt(0)
	v_mul_f16_sdwa v71, v54, v38 dst_sel:DWORD dst_unused:UNUSED_PAD src0_sel:DWORD src1_sel:WORD_1
	v_mul_f16_sdwa v72, v32, v38 dst_sel:DWORD dst_unused:UNUSED_PAD src0_sel:DWORD src1_sel:WORD_1
	v_fma_f16 v30, v30, v12, -v55
	v_fmac_f16_e32 v56, v41, v12
	v_fma_f16 v23, v23, v13, -v57
	v_fmac_f16_e32 v58, v42, v13
	;; [unrolled: 2-line block ×9, first 2 shown]
	v_add_f16_e32 v41, v29, v23
	v_add_f16_e32 v42, v25, v27
	v_sub_f16_e32 v46, v23, v25
	v_sub_f16_e32 v47, v31, v27
	v_add_f16_e32 v51, v23, v31
	v_add_f16_e32 v55, v45, v58
	v_sub_f16_e32 v61, v58, v62
	v_sub_f16_e32 v63, v70, v66
	v_add_f16_e32 v69, v30, v24
	v_add_f16_e32 v71, v26, v28
	;; [unrolled: 1-line block ×6, first 2 shown]
	v_sub_f16_e32 v43, v58, v70
	v_sub_f16_e32 v44, v62, v66
	;; [unrolled: 1-line block ×4, first 2 shown]
	v_add_f16_e32 v57, v62, v66
	v_sub_f16_e32 v59, v25, v27
	v_add_f16_e32 v65, v58, v70
	v_sub_f16_e32 v58, v62, v58
	v_sub_f16_e32 v67, v66, v70
	;; [unrolled: 1-line block ×7, first 2 shown]
	v_add_f16_e32 v25, v41, v25
	v_fma_f16 v42, -0.5, v42, v29
	v_add_f16_e32 v41, v46, v47
	v_fmac_f16_e32 v29, -0.5, v51
	v_add_f16_e32 v47, v55, v62
	v_add_f16_e32 v51, v61, v63
	;; [unrolled: 1-line block ×3, first 2 shown]
	v_fma_f16 v55, -0.5, v71, v30
	v_add_f16_e32 v61, v80, v64
	v_fma_f16 v62, -0.5, v81, v56
	v_sub_f16_e32 v74, v64, v68
	v_fmac_f16_e32 v30, -0.5, v77
	v_fmac_f16_e32 v56, -0.5, v85
	v_sub_f16_e32 v76, v32, v28
	v_sub_f16_e32 v79, v28, v32
	;; [unrolled: 1-line block ×4, first 2 shown]
	v_add_f16_e32 v46, v52, v54
	v_add_f16_e32 v52, v58, v67
	;; [unrolled: 1-line block ×3, first 2 shown]
	v_fmamk_f16 v67, v73, 0x3b9c, v55
	v_add_f16_e32 v28, v61, v68
	v_fmamk_f16 v61, v24, 0xbb9c, v62
	v_sub_f16_e32 v60, v64, v60
	v_sub_f16_e32 v86, v68, v72
	v_fmamk_f16 v69, v74, 0xbb9c, v30
	v_fmac_f16_e32 v30, 0x3b9c, v74
	v_fmamk_f16 v68, v82, 0x3b9c, v56
	v_fmac_f16_e32 v56, 0xbb9c, v82
	v_fmac_f16_e32 v55, 0xbb9c, v73
	;; [unrolled: 1-line block ×3, first 2 shown]
	v_sub_f16_e32 v23, v23, v31
	v_fma_f16 v54, -0.5, v57, v45
	v_fmac_f16_e32 v45, -0.5, v65
	v_add_f16_e32 v57, v75, v76
	v_add_f16_e32 v63, v83, v84
	;; [unrolled: 1-line block ×3, first 2 shown]
	v_fmac_f16_e32 v67, 0x38b4, v74
	v_fmac_f16_e32 v61, 0xb8b4, v82
	v_add_f16_e32 v58, v78, v79
	v_add_f16_e32 v60, v60, v86
	v_fmamk_f16 v64, v43, 0x3b9c, v42
	v_fmac_f16_e32 v42, 0xbb9c, v43
	v_add_f16_e32 v27, v47, v66
	v_fmac_f16_e32 v69, 0x38b4, v73
	v_fmac_f16_e32 v30, 0xb8b4, v73
	;; [unrolled: 1-line block ×6, first 2 shown]
	v_fmamk_f16 v65, v44, 0xbb9c, v29
	v_fmac_f16_e32 v29, 0x3b9c, v44
	v_fmamk_f16 v47, v23, 0xbb9c, v54
	v_fmamk_f16 v66, v59, 0x3b9c, v45
	v_fmac_f16_e32 v45, 0xbb9c, v59
	v_add_f16_e32 v25, v25, v31
	v_add_f16_e32 v26, v26, v32
	v_fmac_f16_e32 v67, 0x34f2, v57
	v_fmac_f16_e32 v61, 0x34f2, v63
	;; [unrolled: 1-line block ×4, first 2 shown]
	v_add_f16_e32 v27, v27, v70
	v_add_f16_e32 v31, v28, v72
	v_fmac_f16_e32 v69, 0x34f2, v58
	v_fmac_f16_e32 v30, 0x34f2, v58
	;; [unrolled: 1-line block ×12, first 2 shown]
	v_add_f16_e32 v23, v25, v26
	v_sub_f16_e32 v28, v25, v26
	v_mul_f16_e32 v25, 0x38b4, v61
	v_mul_f16_e32 v43, 0xb8b4, v67
	v_fmac_f16_e32 v64, 0x34f2, v41
	v_fmac_f16_e32 v42, 0x34f2, v41
	v_add_f16_e32 v41, v27, v31
	v_sub_f16_e32 v44, v27, v31
	v_mul_f16_e32 v26, 0x3b9c, v68
	v_mul_f16_e32 v24, 0x34f2, v30
	;; [unrolled: 1-line block ×4, first 2 shown]
	v_fmac_f16_e32 v54, 0x38b4, v59
	v_mul_f16_e32 v27, 0x3a79, v55
	v_mul_f16_e32 v32, 0x3a79, v62
	v_fmac_f16_e32 v47, 0x34f2, v51
	v_fmac_f16_e32 v25, 0x3a79, v67
	;; [unrolled: 1-line block ×8, first 2 shown]
	v_fma_f16 v56, v56, 0x3b9c, -v24
	v_fmac_f16_e32 v57, 0x34f2, v68
	v_fma_f16 v61, v30, 0xbb9c, -v31
	v_fmac_f16_e32 v54, 0x34f2, v51
	v_fma_f16 v60, v62, 0x38b4, -v27
	v_fma_f16 v62, v55, 0xb8b4, -v32
	v_add_f16_e32 v24, v64, v25
	v_add_f16_e32 v52, v47, v43
	;; [unrolled: 1-line block ×8, first 2 shown]
	v_sub_f16_e32 v25, v64, v25
	v_sub_f16_e32 v26, v65, v26
	;; [unrolled: 1-line block ×8, first 2 shown]
	v_pack_b32_f16 v58, v23, v41
	v_pack_b32_f16 v54, v24, v52
	;; [unrolled: 1-line block ×10, first 2 shown]
	ds_write2_b32 v33, v58, v54 offset1:143
	ds_write2_b32 v48, v56, v57 offset0:30 offset1:173
	ds_write2_b32 v49, v60, v59 offset0:60 offset1:203
	;; [unrolled: 1-line block ×4, first 2 shown]
	s_waitcnt lgkmcnt(0)
	s_barrier
	buffer_gl0_inv
	s_and_saveexec_b32 s2, vcc_lo
	s_cbranch_execz .LBB0_13
; %bb.12:
	v_add_co_u32 v60, s1, s14, v33
	v_add_co_ci_u32_e64 v61, null, s15, 0, s1
	v_add_nc_u32_e32 v78, 0xe00, v33
	v_add_co_u32 v53, s1, 0x1000, v60
	v_add_co_ci_u32_e64 v54, s1, 0, v61, s1
	v_add_nc_u32_e32 v79, 0x1200, v33
	global_load_dword v62, v[53:54], off offset:1624
	v_add_co_u32 v53, s1, 0x1658, v60
	v_add_co_ci_u32_e64 v54, s1, 0, v61, s1
	v_add_co_u32 v56, s1, 0x1800, v60
	v_add_co_ci_u32_e64 v57, s1, 0, v61, s1
	;; [unrolled: 2-line block ×3, first 2 shown]
	s_clause 0x7
	global_load_dword v66, v[53:54], off offset:440
	global_load_dword v67, v[53:54], off offset:880
	;; [unrolled: 1-line block ×8, first 2 shown]
	v_add_co_u32 v53, s1, 0x2800, v60
	v_add_co_ci_u32_e64 v54, s1, 0, v61, s1
	s_clause 0x3
	global_load_dword v74, v[58:59], off offset:1488
	global_load_dword v75, v[58:59], off offset:1928
	;; [unrolled: 1-line block ×4, first 2 shown]
	ds_read_b32 v53, v33
	s_waitcnt lgkmcnt(0)
	v_lshrrev_b32_e32 v54, 16, v53
	s_waitcnt vmcnt(12)
	v_mul_f16_sdwa v56, v54, v62 dst_sel:DWORD dst_unused:UNUSED_PAD src0_sel:DWORD src1_sel:WORD_1
	v_mul_f16_sdwa v57, v53, v62 dst_sel:DWORD dst_unused:UNUSED_PAD src0_sel:DWORD src1_sel:WORD_1
	v_fma_f16 v53, v53, v62, -v56
	v_fmac_f16_e32 v57, v54, v62
	v_pack_b32_f16 v53, v53, v57
	ds_write_b32 v33, v53
	ds_read2_b32 v[53:54], v33 offset0:110 offset1:220
	ds_read2_b32 v[56:57], v48 offset0:74 offset1:184
	;; [unrolled: 1-line block ×6, first 2 shown]
	s_waitcnt lgkmcnt(5)
	v_lshrrev_b32_e32 v80, 16, v53
	s_waitcnt vmcnt(11)
	v_mul_f16_sdwa v81, v53, v66 dst_sel:DWORD dst_unused:UNUSED_PAD src0_sel:DWORD src1_sel:WORD_1
	v_lshrrev_b32_e32 v82, 16, v54
	s_waitcnt vmcnt(10)
	v_mul_f16_sdwa v83, v54, v67 dst_sel:DWORD dst_unused:UNUSED_PAD src0_sel:DWORD src1_sel:WORD_1
	s_waitcnt lgkmcnt(4)
	v_lshrrev_b32_e32 v84, 16, v56
	s_waitcnt vmcnt(9)
	v_mul_f16_sdwa v85, v56, v68 dst_sel:DWORD dst_unused:UNUSED_PAD src0_sel:DWORD src1_sel:WORD_1
	v_lshrrev_b32_e32 v86, 16, v57
	s_waitcnt vmcnt(5)
	v_mul_f16_sdwa v87, v57, v72 dst_sel:DWORD dst_unused:UNUSED_PAD src0_sel:DWORD src1_sel:WORD_1
	s_waitcnt lgkmcnt(3)
	v_lshrrev_b32_e32 v88, 16, v58
	v_mul_f16_sdwa v89, v58, v69 dst_sel:DWORD dst_unused:UNUSED_PAD src0_sel:DWORD src1_sel:WORD_1
	v_lshrrev_b32_e32 v90, 16, v59
	v_mul_f16_sdwa v91, v59, v70 dst_sel:DWORD dst_unused:UNUSED_PAD src0_sel:DWORD src1_sel:WORD_1
	s_waitcnt lgkmcnt(2)
	v_lshrrev_b32_e32 v92, 16, v60
	v_mul_f16_sdwa v93, v60, v71 dst_sel:DWORD dst_unused:UNUSED_PAD src0_sel:DWORD src1_sel:WORD_1
	v_lshrrev_b32_e32 v94, 16, v61
	s_waitcnt vmcnt(4)
	v_mul_f16_sdwa v95, v61, v73 dst_sel:DWORD dst_unused:UNUSED_PAD src0_sel:DWORD src1_sel:WORD_1
	s_waitcnt lgkmcnt(1)
	v_lshrrev_b32_e32 v96, 16, v62
	s_waitcnt vmcnt(3)
	v_mul_f16_sdwa v97, v62, v74 dst_sel:DWORD dst_unused:UNUSED_PAD src0_sel:DWORD src1_sel:WORD_1
	v_lshrrev_b32_e32 v98, 16, v63
	s_waitcnt vmcnt(2)
	v_mul_f16_sdwa v99, v63, v75 dst_sel:DWORD dst_unused:UNUSED_PAD src0_sel:DWORD src1_sel:WORD_1
	s_waitcnt lgkmcnt(0)
	v_lshrrev_b32_e32 v100, 16, v64
	s_waitcnt vmcnt(1)
	v_mul_f16_sdwa v101, v64, v76 dst_sel:DWORD dst_unused:UNUSED_PAD src0_sel:DWORD src1_sel:WORD_1
	v_lshrrev_b32_e32 v102, 16, v65
	v_mul_f16_sdwa v104, v80, v66 dst_sel:DWORD dst_unused:UNUSED_PAD src0_sel:DWORD src1_sel:WORD_1
	v_fmac_f16_e32 v81, v80, v66
	v_mul_f16_sdwa v80, v82, v67 dst_sel:DWORD dst_unused:UNUSED_PAD src0_sel:DWORD src1_sel:WORD_1
	v_fmac_f16_e32 v83, v82, v67
	;; [unrolled: 2-line block ×9, first 2 shown]
	v_mul_f16_sdwa v96, v98, v75 dst_sel:DWORD dst_unused:UNUSED_PAD src0_sel:DWORD src1_sel:WORD_1
	s_waitcnt vmcnt(0)
	v_mul_f16_sdwa v103, v65, v77 dst_sel:DWORD dst_unused:UNUSED_PAD src0_sel:DWORD src1_sel:WORD_1
	v_fmac_f16_e32 v99, v98, v75
	v_mul_f16_sdwa v98, v100, v76 dst_sel:DWORD dst_unused:UNUSED_PAD src0_sel:DWORD src1_sel:WORD_1
	v_fmac_f16_e32 v101, v100, v76
	v_mul_f16_sdwa v100, v102, v77 dst_sel:DWORD dst_unused:UNUSED_PAD src0_sel:DWORD src1_sel:WORD_1
	v_fma_f16 v53, v53, v66, -v104
	v_fma_f16 v54, v54, v67, -v80
	v_fma_f16 v56, v56, v68, -v82
	v_fma_f16 v57, v57, v72, -v84
	v_fma_f16 v58, v58, v69, -v86
	v_fma_f16 v59, v59, v70, -v88
	v_fma_f16 v60, v60, v71, -v90
	v_fma_f16 v61, v61, v73, -v92
	v_fma_f16 v62, v62, v74, -v94
	v_fma_f16 v63, v63, v75, -v96
	v_fmac_f16_e32 v103, v102, v77
	v_fma_f16 v64, v64, v76, -v98
	v_fma_f16 v65, v65, v77, -v100
	v_pack_b32_f16 v53, v53, v81
	v_pack_b32_f16 v54, v54, v83
	;; [unrolled: 1-line block ×12, first 2 shown]
	ds_write2_b32 v33, v53, v54 offset0:110 offset1:220
	ds_write2_b32 v48, v56, v57 offset0:74 offset1:184
	;; [unrolled: 1-line block ×6, first 2 shown]
.LBB0_13:
	s_or_b32 exec_lo, exec_lo, s2
	s_waitcnt lgkmcnt(0)
	s_barrier
	buffer_gl0_inv
	s_and_saveexec_b32 s1, vcc_lo
	s_cbranch_execz .LBB0_15
; %bb.14:
	v_add_nc_u32_e32 v19, 0x200, v33
	v_add_nc_u32_e32 v20, 0x600, v33
	;; [unrolled: 1-line block ×3, first 2 shown]
	ds_read2_b32 v[23:24], v33 offset1:110
	ds_read2_b32 v[31:32], v19 offset0:92 offset1:202
	v_add_nc_u32_e32 v19, 0xc00, v33
	ds_read2_b32 v[27:28], v20 offset0:56 offset1:166
	v_add_nc_u32_e32 v20, 0x1000, v33
	ds_read2_b32 v[25:26], v21 offset0:20 offset1:130
	ds_read2_b32 v[29:30], v19 offset0:112 offset1:222
	;; [unrolled: 1-line block ×3, first 2 shown]
	ds_read_b32 v21, v33 offset:5280
	s_waitcnt lgkmcnt(6)
	v_lshrrev_b32_e32 v41, 16, v23
	v_lshrrev_b32_e32 v52, 16, v24
	s_waitcnt lgkmcnt(5)
	v_lshrrev_b32_e32 v55, 16, v31
	v_lshrrev_b32_e32 v51, 16, v32
	;; [unrolled: 3-line block ×6, first 2 shown]
	s_waitcnt lgkmcnt(0)
	v_lshrrev_b32_e32 v39, 16, v21
.LBB0_15:
	s_or_b32 exec_lo, exec_lo, s1
	v_add_f16_e32 v48, v24, v23
	v_add_f16_e32 v49, v52, v41
	v_sub_f16_e32 v56, v52, v39
	v_add_f16_e32 v53, v21, v24
	v_add_f16_e32 v54, v39, v52
	;; [unrolled: 1-line block ×4, first 2 shown]
	v_mul_f16_e32 v59, 0xbbf1, v56
	v_mul_f16_e32 v63, 0xb94e, v56
	v_sub_f16_e32 v24, v24, v21
	v_add_f16_e32 v57, v32, v50
	v_add_f16_e32 v58, v51, v49
	v_fmamk_f16 v68, v53, 0x2fb7, v59
	v_fma_f16 v59, v53, 0x2fb7, -v59
	v_mul_f16_e32 v48, 0xb770, v56
	v_add_f16_e32 v57, v27, v57
	v_add_f16_e32 v58, v46, v58
	v_mul_f16_e32 v49, 0xb770, v24
	v_add_f16_e32 v72, v23, v59
	v_mul_f16_e32 v50, 0xba95, v56
	v_add_f16_e32 v57, v28, v57
	v_add_f16_e32 v58, v44, v58
	v_mul_f16_e32 v61, 0xbb7b, v56
	v_mul_f16_e32 v56, 0xb3a8, v56
	v_sub_f16_e32 v78, v55, v22
	v_add_f16_e32 v57, v25, v57
	v_add_f16_e32 v58, v42, v58
	v_mul_f16_e32 v52, 0xba95, v24
	v_mul_f16_e32 v60, 0x2fb7, v54
	;; [unrolled: 1-line block ×3, first 2 shown]
	v_add_f16_e32 v57, v26, v57
	v_add_f16_e32 v58, v43, v58
	v_fmamk_f16 v64, v53, 0x3b15, v48
	v_fma_f16 v65, v54, 0x3b15, -v49
	v_fmamk_f16 v74, v53, 0xbbc4, v56
	v_add_f16_e32 v57, v29, v57
	v_add_f16_e32 v58, v45, v58
	v_fma_f16 v56, v53, 0xbbc4, -v56
	v_fmamk_f16 v66, v53, 0x388b, v50
	v_fma_f16 v67, v54, 0x388b, -v52
	v_add_f16_e32 v57, v30, v57
	v_add_f16_e32 v58, v47, v58
	v_fmamk_f16 v69, v24, 0x3bf1, v60
	v_fmac_f16_e32 v60, 0xbbf1, v24
	v_fmamk_f16 v71, v24, 0x3b7b, v62
	v_add_f16_e32 v57, v19, v57
	v_add_f16_e32 v58, v40, v58
	;; [unrolled: 1-line block ×4, first 2 shown]
	v_fmac_f16_e32 v62, 0xbb7b, v24
	v_add_f16_e32 v57, v20, v57
	v_add_f16_e32 v58, v22, v58
	v_mul_f16_e32 v80, 0xb3a8, v78
	v_add_f16_e32 v66, v23, v66
	v_add_f16_e32 v67, v41, v67
	;; [unrolled: 1-line block ×4, first 2 shown]
	v_fmamk_f16 v57, v53, 0xb9fd, v63
	v_mul_f16_e32 v58, 0xb9fd, v54
	v_add_f16_e32 v68, v23, v68
	v_add_f16_e32 v60, v41, v60
	v_fmamk_f16 v70, v53, 0xb5ac, v61
	v_add_f16_e32 v73, v23, v57
	v_mul_f16_e32 v57, 0xbbc4, v54
	v_fmamk_f16 v59, v24, 0x394e, v58
	v_fmac_f16_e32 v58, 0xb94e, v24
	v_fma_f16 v61, v53, 0xb5ac, -v61
	v_add_f16_e32 v71, v41, v71
	v_fmamk_f16 v75, v24, 0x33a8, v57
	v_add_f16_e32 v76, v41, v59
	v_fmac_f16_e32 v57, 0xb3a8, v24
	v_add_f16_e32 v59, v20, v31
	v_sub_f16_e32 v20, v31, v20
	v_mul_f16_e32 v31, 0xba95, v78
	v_add_f16_e32 v77, v41, v58
	v_add_f16_e32 v79, v41, v57
	v_add_f16_e32 v57, v22, v55
	v_mul_f16_e32 v55, 0xba95, v20
	v_add_f16_e32 v24, v23, v56
	v_fmamk_f16 v22, v59, 0x388b, v31
	v_mul_f16_e32 v56, 0xbb7b, v78
	v_mul_f16_e32 v58, 0xbb7b, v20
	v_fma_f16 v81, v57, 0x388b, -v55
	v_fmamk_f16 v83, v59, 0xbbc4, v80
	v_add_f16_e32 v22, v22, v64
	v_fmamk_f16 v64, v59, 0xb5ac, v56
	v_fma_f16 v82, v57, 0xb5ac, -v58
	v_add_f16_e32 v65, v81, v65
	v_mul_f16_e32 v81, 0xbbc4, v57
	v_fma_f16 v80, v59, 0xbbc4, -v80
	v_add_f16_e32 v64, v64, v66
	v_add_f16_e32 v66, v82, v67
	;; [unrolled: 1-line block ×3, first 2 shown]
	v_fmamk_f16 v82, v20, 0x33a8, v81
	v_fmac_f16_e32 v81, 0xb3a8, v20
	v_mul_f16_e32 v83, 0xb9fd, v57
	v_mul_f16_e32 v68, 0x394e, v78
	v_add_f16_e32 v72, v80, v72
	v_add_f16_e32 v61, v23, v61
	;; [unrolled: 1-line block ×3, first 2 shown]
	v_fmamk_f16 v60, v20, 0xb94e, v83
	v_add_f16_e32 v62, v41, v62
	v_fma_f16 v63, v53, 0xb9fd, -v63
	v_fmamk_f16 v84, v59, 0xb9fd, v68
	v_mul_f16_e32 v81, 0x3bf1, v78
	v_fma_f16 v68, v59, 0xb9fd, -v68
	v_fmac_f16_e32 v83, 0x394e, v20
	v_add_f16_e32 v71, v60, v71
	v_mul_f16_e32 v60, 0x2fb7, v57
	v_add_f16_e32 v69, v41, v69
	v_add_f16_e32 v63, v23, v63
	;; [unrolled: 1-line block ×4, first 2 shown]
	v_mul_f16_e32 v61, 0x3770, v78
	v_fmamk_f16 v62, v20, 0xbbf1, v60
	v_fma_f16 v78, v59, 0x2fb7, -v81
	v_add_f16_e32 v74, v23, v74
	v_add_f16_e32 v69, v82, v69
	v_fmamk_f16 v82, v59, 0x2fb7, v81
	v_fmac_f16_e32 v60, 0x3bf1, v20
	v_fmamk_f16 v81, v59, 0x3b15, v61
	v_add_f16_e32 v76, v62, v76
	v_mul_f16_e32 v62, 0x3b15, v57
	v_add_f16_e32 v63, v78, v63
	v_sub_f16_e32 v78, v51, v40
	v_add_f16_e32 v75, v41, v75
	v_add_f16_e32 v73, v82, v73
	;; [unrolled: 1-line block ×4, first 2 shown]
	v_fmamk_f16 v81, v20, 0xb770, v62
	v_fma_f16 v82, v59, 0x3b15, -v61
	v_fmac_f16_e32 v62, 0x3770, v20
	v_add_f16_e32 v61, v19, v32
	v_mul_f16_e32 v60, 0xbbf1, v78
	v_sub_f16_e32 v19, v32, v19
	v_add_f16_e32 v70, v23, v70
	v_add_f16_e32 v20, v81, v75
	;; [unrolled: 1-line block ×3, first 2 shown]
	v_fmamk_f16 v79, v61, 0x2fb7, v60
	v_add_f16_e32 v51, v40, v51
	v_mul_f16_e32 v32, 0xbbf1, v19
	v_mul_f16_e32 v40, 0xb3a8, v78
	;; [unrolled: 1-line block ×3, first 2 shown]
	v_add_f16_e32 v70, v84, v70
	v_add_f16_e32 v24, v82, v24
	v_add_f16_e32 v22, v79, v22
	v_mul_f16_e32 v79, 0x3b7b, v78
	v_fma_f16 v81, v51, 0x2fb7, -v32
	v_fmamk_f16 v82, v61, 0xbbc4, v40
	v_fma_f16 v84, v51, 0xbbc4, -v62
	v_mul_f16_e32 v85, 0xb5ac, v51
	v_fmamk_f16 v86, v61, 0xb5ac, v79
	v_add_f16_e32 v81, v81, v65
	v_add_f16_e32 v64, v82, v64
	;; [unrolled: 1-line block ×3, first 2 shown]
	v_fmamk_f16 v65, v19, 0xbb7b, v85
	v_fma_f16 v66, v61, 0xb5ac, -v79
	v_mul_f16_e32 v79, 0x3770, v78
	v_fmac_f16_e32 v85, 0x3b7b, v19
	v_mul_f16_e32 v84, 0xba95, v78
	v_add_f16_e32 v69, v65, v69
	v_mul_f16_e32 v65, 0x3b15, v51
	v_add_f16_e32 v72, v66, v72
	v_fmamk_f16 v66, v61, 0x3b15, v79
	v_fma_f16 v79, v61, 0x3b15, -v79
	v_add_f16_e32 v80, v85, v80
	v_fmamk_f16 v85, v19, 0xb770, v65
	v_fmac_f16_e32 v65, 0x3770, v19
	v_add_f16_e32 v70, v66, v70
	v_fmamk_f16 v66, v61, 0x388b, v84
	v_add_f16_e32 v79, v79, v68
	v_mul_f16_e32 v68, 0x388b, v51
	v_add_f16_e32 v83, v65, v83
	v_mul_f16_e32 v65, 0xb94e, v78
	;; [unrolled: 2-line block ×3, first 2 shown]
	v_fmamk_f16 v78, v19, 0x3a95, v68
	v_fma_f16 v84, v61, 0x388b, -v84
	v_add_f16_e32 v67, v86, v67
	v_fmac_f16_e32 v68, 0xba95, v19
	v_fmamk_f16 v86, v19, 0x394e, v66
	v_add_f16_e32 v76, v78, v76
	v_add_f16_e32 v78, v84, v63
	v_sub_f16_e32 v84, v46, v47
	v_fmac_f16_e32 v66, 0xb94e, v19
	v_sub_f16_e32 v19, v27, v30
	v_add_f16_e32 v71, v85, v71
	v_fmamk_f16 v85, v61, 0xb9fd, v65
	v_add_f16_e32 v77, v68, v77
	v_fma_f16 v68, v61, 0xb9fd, -v65
	v_add_f16_e32 v65, v30, v27
	v_mul_f16_e32 v63, 0xbb7b, v84
	v_add_f16_e32 v27, v66, v75
	v_add_f16_e32 v66, v47, v46
	v_mul_f16_e32 v46, 0xbb7b, v19
	v_add_f16_e32 v74, v85, v74
	v_add_f16_e32 v24, v68, v24
	v_fmamk_f16 v30, v65, 0xb5ac, v63
	v_mul_f16_e32 v47, 0x394e, v84
	v_mul_f16_e32 v68, 0x394e, v19
	;; [unrolled: 1-line block ×3, first 2 shown]
	v_fma_f16 v85, v66, 0xb5ac, -v46
	v_add_f16_e32 v20, v86, v20
	v_add_f16_e32 v22, v30, v22
	v_fmamk_f16 v30, v65, 0xb9fd, v47
	v_fma_f16 v86, v66, 0xb9fd, -v68
	v_fmamk_f16 v87, v65, 0x3b15, v75
	v_add_f16_e32 v81, v85, v81
	v_mul_f16_e32 v85, 0x3b15, v66
	v_add_f16_e32 v30, v30, v64
	v_add_f16_e32 v64, v86, v82
	;; [unrolled: 1-line block ×3, first 2 shown]
	v_mul_f16_e32 v82, 0xbbf1, v84
	v_fmamk_f16 v86, v19, 0xb770, v85
	v_fma_f16 v75, v65, 0x3b15, -v75
	v_fmac_f16_e32 v85, 0x3770, v19
	v_mul_f16_e32 v87, 0x2fb7, v66
	v_fmamk_f16 v88, v65, 0x2fb7, v82
	v_fma_f16 v82, v65, 0x2fb7, -v82
	v_add_f16_e32 v72, v75, v72
	v_add_f16_e32 v80, v85, v80
	v_fmamk_f16 v75, v19, 0x3bf1, v87
	v_mul_f16_e32 v85, 0x33a8, v84
	v_fmac_f16_e32 v87, 0xbbf1, v19
	v_add_f16_e32 v69, v86, v69
	v_add_f16_e32 v79, v82, v79
	;; [unrolled: 1-line block ×3, first 2 shown]
	v_fmamk_f16 v86, v65, 0xbbc4, v85
	v_add_f16_e32 v82, v87, v83
	v_mul_f16_e32 v83, 0x3a95, v84
	v_mul_f16_e32 v75, 0xbbc4, v66
	;; [unrolled: 1-line block ×3, first 2 shown]
	v_add_f16_e32 v86, v86, v73
	v_fma_f16 v73, v65, 0xbbc4, -v85
	v_fmamk_f16 v85, v65, 0x388b, v83
	v_fmamk_f16 v84, v19, 0xb3a8, v75
	v_fmac_f16_e32 v75, 0x33a8, v19
	v_sub_f16_e32 v90, v44, v45
	v_add_f16_e32 v70, v88, v70
	v_add_f16_e32 v85, v85, v74
	v_fmamk_f16 v74, v19, 0xba95, v87
	v_add_f16_e32 v84, v84, v76
	v_add_f16_e32 v88, v73, v78
	;; [unrolled: 1-line block ×3, first 2 shown]
	v_fma_f16 v75, v65, 0x388b, -v83
	v_fmac_f16_e32 v87, 0x3a95, v19
	v_add_f16_e32 v76, v29, v28
	v_mul_f16_e32 v73, 0xb94e, v90
	v_add_f16_e32 v19, v74, v20
	v_sub_f16_e32 v20, v28, v29
	v_add_f16_e32 v24, v75, v24
	v_add_f16_e32 v78, v45, v44
	v_fmamk_f16 v28, v76, 0xb9fd, v73
	v_mul_f16_e32 v75, 0x3bf1, v90
	v_mul_f16_e32 v77, 0x3bf1, v20
	v_add_f16_e32 v27, v87, v27
	v_mul_f16_e32 v83, 0x388b, v78
	v_add_f16_e32 v22, v28, v22
	v_mul_f16_e32 v28, 0xba95, v90
	v_fmamk_f16 v44, v76, 0x2fb7, v75
	v_fma_f16 v45, v78, 0x2fb7, -v77
	v_mul_f16_e32 v74, 0xb94e, v20
	v_sub_f16_e32 v94, v42, v43
	v_fmamk_f16 v87, v76, 0x388b, v28
	v_add_f16_e32 v30, v44, v30
	v_add_f16_e32 v44, v45, v64
	v_fmamk_f16 v45, v20, 0x3a95, v83
	v_fma_f16 v28, v76, 0x388b, -v28
	v_mul_f16_e32 v64, 0x33a8, v90
	v_fmac_f16_e32 v83, 0xba95, v20
	v_add_f16_e32 v67, v87, v67
	v_fma_f16 v29, v78, 0xb9fd, -v74
	v_add_f16_e32 v28, v28, v72
	v_fmamk_f16 v72, v76, 0xbbc4, v64
	v_add_f16_e32 v87, v83, v80
	v_mul_f16_e32 v80, 0x3770, v90
	v_add_f16_e32 v69, v45, v69
	v_mul_f16_e32 v45, 0xbbc4, v78
	v_fma_f16 v64, v76, 0xbbc4, -v64
	v_add_f16_e32 v72, v72, v70
	v_fmamk_f16 v70, v76, 0x3b15, v80
	v_add_f16_e32 v29, v29, v81
	v_fmamk_f16 v81, v20, 0xb3a8, v45
	v_fmac_f16_e32 v45, 0x33a8, v20
	v_add_f16_e32 v91, v64, v79
	v_mul_f16_e32 v64, 0x3b15, v78
	v_add_f16_e32 v86, v70, v86
	v_mul_f16_e32 v70, 0xb5ac, v78
	;; [unrolled: 2-line block ×3, first 2 shown]
	v_fmamk_f16 v79, v20, 0xb770, v64
	v_fma_f16 v80, v76, 0x3b15, -v80
	v_fmamk_f16 v82, v20, 0x3b7b, v70
	v_sub_f16_e32 v95, v25, v26
	v_add_f16_e32 v71, v81, v71
	v_fmamk_f16 v81, v76, 0xb5ac, v45
	v_add_f16_e32 v90, v79, v84
	v_add_f16_e32 v88, v80, v88
	;; [unrolled: 1-line block ×3, first 2 shown]
	v_fma_f16 v19, v76, 0xb5ac, -v45
	v_add_f16_e32 v83, v26, v25
	v_mul_f16_e32 v79, 0xb3a8, v94
	v_add_f16_e32 v84, v43, v42
	v_mul_f16_e32 v80, 0xb3a8, v95
	v_fmac_f16_e32 v64, 0x3770, v20
	v_add_f16_e32 v85, v81, v85
	v_fmac_f16_e32 v70, 0xbb7b, v20
	v_add_f16_e32 v96, v19, v24
	v_fmamk_f16 v19, v83, 0xbbc4, v79
	v_mul_f16_e32 v81, 0x3770, v94
	v_mul_f16_e32 v82, 0x3770, v95
	v_fma_f16 v20, v84, 0xbbc4, -v80
	v_mul_f16_e32 v26, 0xb94e, v94
	v_add_f16_e32 v97, v70, v27
	v_add_f16_e32 v22, v19, v22
	v_fmamk_f16 v19, v83, 0x3b15, v81
	v_fma_f16 v25, v84, 0x3b15, -v82
	v_add_f16_e32 v45, v20, v29
	v_fmamk_f16 v20, v83, 0xb9fd, v26
	v_mul_f16_e32 v27, 0xb9fd, v84
	v_mul_f16_e32 v29, 0x3a95, v94
	v_add_f16_e32 v89, v64, v89
	v_add_f16_e32 v24, v19, v30
	;; [unrolled: 1-line block ×4, first 2 shown]
	v_fmamk_f16 v19, v95, 0x394e, v27
	v_fma_f16 v20, v83, 0xb9fd, -v26
	v_fmamk_f16 v26, v83, 0x388b, v29
	v_mul_f16_e32 v30, 0x388b, v84
	v_fmac_f16_e32 v27, 0xb94e, v95
	v_add_f16_e32 v43, v19, v69
	v_add_f16_e32 v69, v20, v28
	;; [unrolled: 1-line block ×3, first 2 shown]
	v_fmamk_f16 v20, v95, 0xba95, v30
	v_mul_f16_e32 v26, 0xbb7b, v94
	v_add_f16_e32 v70, v27, v87
	v_fma_f16 v27, v83, 0x388b, -v29
	v_mul_f16_e32 v42, 0xb5ac, v84
	v_add_f16_e32 v44, v20, v71
	v_fmamk_f16 v20, v83, 0xb5ac, v26
	v_fmac_f16_e32 v30, 0x3a95, v95
	v_add_f16_e32 v29, v27, v91
	v_fmamk_f16 v27, v95, 0x3b7b, v42
	v_fma_f16 v26, v83, 0xb5ac, -v26
	v_add_f16_e32 v20, v20, v86
	v_mul_f16_e32 v67, 0x3bf1, v94
	v_mul_f16_e32 v86, 0x2fb7, v84
	v_add_f16_e32 v72, v30, v92
	v_add_f16_e32 v30, v27, v90
	;; [unrolled: 1-line block ×3, first 2 shown]
	v_fmac_f16_e32 v42, 0xbb7b, v95
	v_fmamk_f16 v26, v83, 0x2fb7, v67
	v_fmamk_f16 v27, v95, 0xbbf1, v86
	v_fma_f16 v67, v83, 0x2fb7, -v67
	v_fmac_f16_e32 v86, 0x3bf1, v95
	v_add_f16_e32 v71, v42, v89
	v_add_f16_e32 v26, v26, v85
	;; [unrolled: 1-line block ×5, first 2 shown]
	s_barrier
	buffer_gl0_inv
	s_and_saveexec_b32 s1, vcc_lo
	s_cbranch_execz .LBB0_17
; %bb.16:
	v_mul_f16_e32 v86, 0x3b15, v54
	v_mul_f16_e32 v54, 0x388b, v54
	;; [unrolled: 1-line block ×6, first 2 shown]
	v_add_f16_e32 v52, v52, v54
	v_mul_f16_e32 v54, 0xb5ac, v57
	v_sub_f16_e32 v50, v53, v50
	v_mul_f16_e32 v88, 0x388b, v57
	v_add_f16_e32 v49, v49, v86
	v_sub_f16_e32 v48, v85, v48
	v_mul_f16_e32 v89, 0x2fb7, v51
	v_add_f16_e32 v52, v41, v52
	v_add_f16_e32 v54, v58, v54
	v_mul_f16_e32 v51, 0xbbc4, v51
	v_mul_f16_e32 v57, 0x2fb7, v61
	;; [unrolled: 1-line block ×3, first 2 shown]
	v_add_f16_e32 v50, v23, v50
	v_sub_f16_e32 v56, v59, v56
	v_add_f16_e32 v41, v41, v49
	v_add_f16_e32 v49, v55, v88
	;; [unrolled: 1-line block ×3, first 2 shown]
	v_sub_f16_e32 v31, v87, v31
	v_add_f16_e32 v52, v54, v52
	v_add_f16_e32 v51, v62, v51
	v_mul_f16_e32 v54, 0xb9fd, v66
	v_mul_f16_e32 v58, 0xb5ac, v65
	v_mul_f16_e32 v65, 0xb9fd, v65
	v_add_f16_e32 v50, v56, v50
	v_sub_f16_e32 v40, v61, v40
	v_mul_f16_e32 v90, 0xb5ac, v66
	v_add_f16_e32 v41, v49, v41
	v_add_f16_e32 v32, v32, v89
	;; [unrolled: 1-line block ×3, first 2 shown]
	v_sub_f16_e32 v31, v57, v60
	v_add_f16_e32 v51, v51, v52
	v_add_f16_e32 v52, v68, v54
	v_mul_f16_e32 v54, 0x2fb7, v78
	v_mul_f16_e32 v62, 0xb9fd, v76
	;; [unrolled: 1-line block ×3, first 2 shown]
	v_add_f16_e32 v40, v40, v50
	v_sub_f16_e32 v47, v65, v47
	v_mul_f16_e32 v66, 0xb9fd, v78
	v_add_f16_e32 v32, v32, v41
	v_add_f16_e32 v41, v46, v90
	;; [unrolled: 1-line block ×3, first 2 shown]
	v_sub_f16_e32 v31, v58, v63
	v_add_f16_e32 v51, v52, v51
	v_add_f16_e32 v52, v77, v54
	v_mul_f16_e32 v54, 0x3b15, v84
	v_mul_f16_e32 v53, 0x3b15, v83
	v_add_f16_e32 v40, v47, v40
	v_sub_f16_e32 v47, v76, v75
	v_mul_f16_e32 v68, 0xbbc4, v83
	v_mul_f16_e32 v78, 0xbbc4, v84
	v_add_f16_e32 v32, v41, v32
	v_add_f16_e32 v41, v74, v66
	v_add_f16_e32 v23, v31, v23
	v_sub_f16_e32 v31, v62, v73
	v_mov_b32_e32 v48, 2
	v_add_f16_e32 v51, v52, v51
	v_add_f16_e32 v52, v82, v54
	;; [unrolled: 1-line block ×3, first 2 shown]
	v_sub_f16_e32 v47, v53, v81
	v_add_f16_e32 v32, v41, v32
	v_add_f16_e32 v41, v80, v78
	v_add_f16_e32 v23, v31, v23
	v_sub_f16_e32 v31, v68, v79
	v_lshlrev_b32_sdwa v37, v48, v37 dst_sel:DWORD dst_unused:UNUSED_PAD src0_sel:DWORD src1_sel:WORD_0
	v_perm_b32 v48, v45, v22, 0x5040100
	v_perm_b32 v49, v39, v21, 0x5040100
	v_add_f16_e32 v46, v52, v51
	v_perm_b32 v50, v43, v25, 0x5040100
	v_perm_b32 v51, v64, v24, 0x5040100
	v_add_f16_e32 v40, v47, v40
	v_add_f16_e32 v32, v41, v32
	;; [unrolled: 1-line block ×3, first 2 shown]
	v_perm_b32 v31, v30, v20, 0x5040100
	v_perm_b32 v41, v44, v19, 0x5040100
	ds_write2_b32 v37, v49, v48 offset1:1
	ds_write2_b32 v37, v51, v50 offset0:2 offset1:3
	v_perm_b32 v47, v67, v27, 0x5040100
	v_perm_b32 v48, v42, v26, 0x5040100
	;; [unrolled: 1-line block ×4, first 2 shown]
	v_pack_b32_f16 v40, v40, v46
	v_perm_b32 v46, v70, v69, 0x5040100
	v_pack_b32_f16 v23, v23, v32
	ds_write2_b32 v37, v41, v31 offset0:4 offset1:5
	ds_write2_b32 v37, v48, v47 offset0:6 offset1:7
	;; [unrolled: 1-line block ×4, first 2 shown]
	ds_write_b32 v37, v23 offset:48
.LBB0_17:
	s_or_b32 exec_lo, exec_lo, s1
	s_waitcnt lgkmcnt(0)
	s_barrier
	buffer_gl0_inv
	s_and_saveexec_b32 s1, s0
	s_cbranch_execz .LBB0_19
; %bb.18:
	v_add_nc_u32_e32 v19, 0x400, v33
	v_add_nc_u32_e32 v20, 0x800, v33
	;; [unrolled: 1-line block ×4, first 2 shown]
	ds_read2_b32 v[21:22], v33 offset1:130
	ds_read2_b32 v[24:25], v19 offset0:4 offset1:134
	ds_read2_b32 v[19:20], v20 offset0:8 offset1:138
	;; [unrolled: 1-line block ×4, first 2 shown]
	ds_read_b32 v69, v33 offset:5200
	s_waitcnt lgkmcnt(3)
	v_lshrrev_b32_e32 v44, 16, v19
	v_lshrrev_b32_e32 v39, 16, v21
	;; [unrolled: 1-line block ×6, first 2 shown]
	s_waitcnt lgkmcnt(2)
	v_lshrrev_b32_e32 v42, 16, v26
	v_lshrrev_b32_e32 v67, 16, v27
	s_waitcnt lgkmcnt(1)
	v_lshrrev_b32_e32 v71, 16, v28
	v_lshrrev_b32_e32 v72, 16, v29
	s_waitcnt lgkmcnt(0)
	v_lshrrev_b32_e32 v70, 16, v69
.LBB0_19:
	s_or_b32 exec_lo, exec_lo, s1
	s_barrier
	buffer_gl0_inv
	s_and_saveexec_b32 s1, s0
	s_cbranch_execz .LBB0_21
; %bb.20:
	v_mul_f16_sdwa v23, v4, v45 dst_sel:DWORD dst_unused:UNUSED_PAD src0_sel:WORD_1 src1_sel:DWORD
	v_mul_f16_sdwa v31, v18, v70 dst_sel:DWORD dst_unused:UNUSED_PAD src0_sel:WORD_1 src1_sel:DWORD
	;; [unrolled: 1-line block ×5, first 2 shown]
	v_fmac_f16_e32 v23, v4, v22
	v_fmac_f16_e32 v31, v18, v69
	v_mul_f16_sdwa v41, v4, v22 dst_sel:DWORD dst_unused:UNUSED_PAD src0_sel:WORD_1 src1_sel:DWORD
	v_fmac_f16_e32 v32, v5, v24
	v_fmac_f16_e32 v37, v17, v29
	v_mul_f16_sdwa v29, v17, v29 dst_sel:DWORD dst_unused:UNUSED_PAD src0_sel:WORD_1 src1_sel:DWORD
	v_sub_f16_e32 v22, v23, v31
	v_mul_f16_sdwa v24, v5, v24 dst_sel:DWORD dst_unused:UNUSED_PAD src0_sel:WORD_1 src1_sel:DWORD
	v_fma_f16 v18, v18, v70, -v40
	v_fma_f16 v40, v4, v45, -v41
	v_sub_f16_e32 v4, v32, v37
	v_fma_f16 v17, v17, v72, -v29
	v_fma_f16 v5, v5, v64, -v24
	v_mul_f16_e32 v24, 0xb482, v22
	v_add_f16_e32 v29, v18, v40
	v_mul_f16_e32 v41, 0x3853, v4
	v_mul_f16_sdwa v48, v6, v43 dst_sel:DWORD dst_unused:UNUSED_PAD src0_sel:WORD_1 src1_sel:DWORD
	v_add_f16_e32 v45, v17, v5
	v_mul_f16_sdwa v49, v3, v71 dst_sel:DWORD dst_unused:UNUSED_PAD src0_sel:WORD_1 src1_sel:DWORD
	v_fmamk_f16 v46, v29, 0xbbad, v24
	v_mul_f16_sdwa v50, v3, v28 dst_sel:DWORD dst_unused:UNUSED_PAD src0_sel:WORD_1 src1_sel:DWORD
	v_fmac_f16_e32 v48, v6, v25
	v_fmamk_f16 v47, v45, 0x3abb, v41
	v_fmac_f16_e32 v49, v3, v28
	v_add_f16_e32 v46, v39, v46
	v_mul_f16_sdwa v25, v6, v25 dst_sel:DWORD dst_unused:UNUSED_PAD src0_sel:WORD_1 src1_sel:DWORD
	v_sub_f16_e32 v54, v40, v18
	v_fma_f16 v3, v3, v71, -v50
	v_add_f16_e32 v56, v31, v23
	v_add_f16_e32 v28, v47, v46
	v_mul_f16_sdwa v46, v7, v44 dst_sel:DWORD dst_unused:UNUSED_PAD src0_sel:WORD_1 src1_sel:DWORD
	v_mul_f16_sdwa v47, v2, v67 dst_sel:DWORD dst_unused:UNUSED_PAD src0_sel:WORD_1 src1_sel:DWORD
	v_fma_f16 v6, v6, v43, -v25
	v_mul_f16_sdwa v25, v2, v27 dst_sel:DWORD dst_unused:UNUSED_PAD src0_sel:WORD_1 src1_sel:DWORD
	v_mul_f16_e32 v57, 0xb482, v54
	v_fmac_f16_e32 v46, v7, v19
	v_mul_f16_sdwa v19, v7, v19 dst_sel:DWORD dst_unused:UNUSED_PAD src0_sel:WORD_1 src1_sel:DWORD
	v_fmac_f16_e32 v47, v2, v27
	v_fma_f16 v2, v2, v67, -v25
	v_mul_f16_sdwa v25, v1, v42 dst_sel:DWORD dst_unused:UNUSED_PAD src0_sel:WORD_1 src1_sel:DWORD
	v_sub_f16_e32 v58, v5, v17
	v_fma_f16 v7, v7, v44, -v19
	v_mul_f16_sdwa v19, v0, v30 dst_sel:DWORD dst_unused:UNUSED_PAD src0_sel:WORD_1 src1_sel:DWORD
	v_fma_f16 v59, v56, 0xbbad, -v57
	v_fmac_f16_e32 v25, v1, v26
	v_add_f16_e32 v60, v37, v32
	v_mul_f16_e32 v61, 0x3853, v58
	v_fmac_f16_e32 v19, v0, v20
	v_mul_f16_sdwa v26, v1, v26 dst_sel:DWORD dst_unused:UNUSED_PAD src0_sel:WORD_1 src1_sel:DWORD
	v_sub_f16_e32 v62, v6, v3
	v_mul_f16_sdwa v20, v0, v20 dst_sel:DWORD dst_unused:UNUSED_PAD src0_sel:WORD_1 src1_sel:DWORD
	v_sub_f16_e32 v51, v48, v49
	v_add_f16_e32 v59, v21, v59
	v_fma_f16 v63, v60, 0x3abb, -v61
	v_add_f16_e32 v64, v49, v48
	v_mul_f16_e32 v65, 0xba0c, v62
	v_fma_f16 v1, v1, v42, -v26
	v_sub_f16_e32 v26, v7, v2
	v_fma_f16 v0, v0, v30, -v20
	v_fma_f16 v24, v29, 0xbbad, -v24
	v_mul_f16_e32 v27, 0xba0c, v51
	v_add_f16_e32 v43, v3, v6
	v_sub_f16_e32 v50, v46, v47
	v_add_f16_e32 v20, v63, v59
	v_fma_f16 v30, v64, 0xb93d, -v65
	v_add_f16_e32 v42, v47, v46
	v_mul_f16_e32 v59, 0x3b47, v26
	v_sub_f16_e32 v66, v0, v1
	v_add_f16_e32 v24, v39, v24
	v_fma_f16 v41, v45, 0x3abb, -v41
	v_fmac_f16_e32 v57, 0xbbad, v56
	v_fmamk_f16 v44, v43, 0xb93d, v27
	v_mul_f16_e32 v52, 0x3b47, v50
	v_add_f16_e32 v53, v2, v7
	v_add_f16_e32 v20, v30, v20
	v_fma_f16 v30, v42, 0x36a6, -v59
	v_add_f16_e32 v67, v25, v19
	v_mul_f16_e32 v68, 0xbbeb, v66
	v_add_f16_e32 v24, v41, v24
	v_add_f16_e32 v41, v21, v57
	v_fmac_f16_e32 v61, 0x3abb, v60
	v_add_f16_e32 v28, v44, v28
	v_fmamk_f16 v44, v53, 0x36a6, v52
	v_sub_f16_e32 v55, v19, v25
	v_add_f16_e32 v20, v30, v20
	v_fma_f16 v30, v67, 0xb08e, -v68
	v_fma_f16 v27, v43, 0xb93d, -v27
	v_add_f16_e32 v41, v61, v41
	v_fmac_f16_e32 v65, 0xb93d, v64
	v_add_f16_e32 v28, v44, v28
	v_mul_f16_e32 v44, 0xbbeb, v55
	v_add_f16_e32 v63, v1, v0
	v_add_f16_e32 v20, v30, v20
	v_mul_f16_e32 v30, 0xb93d, v29
	v_add_f16_e32 v24, v27, v24
	v_fma_f16 v27, v53, 0x36a6, -v52
	v_add_f16_e32 v41, v65, v41
	v_fmac_f16_e32 v59, 0x36a6, v42
	v_fmamk_f16 v69, v63, 0xb08e, v44
	v_fmamk_f16 v52, v22, 0x3a0c, v30
	v_mul_f16_e32 v57, 0xb08e, v45
	v_add_f16_e32 v24, v27, v24
	v_fma_f16 v44, v63, 0xb08e, -v44
	v_add_f16_e32 v41, v59, v41
	v_fmac_f16_e32 v68, 0xb08e, v67
	v_mul_f16_e32 v59, 0xba0c, v54
	v_add_f16_e32 v27, v39, v52
	v_fmamk_f16 v52, v4, 0xbbeb, v57
	v_mul_f16_e32 v61, 0x3abb, v43
	v_add_f16_e32 v24, v44, v24
	v_add_f16_e32 v41, v68, v41
	v_fmamk_f16 v44, v56, 0xb93d, v59
	v_mul_f16_e32 v68, 0x3beb, v58
	v_add_f16_e32 v27, v52, v27
	v_fmamk_f16 v52, v51, 0x3853, v61
	v_mul_f16_e32 v65, 0xbbad, v53
	;; [unrolled: 3-line block ×5, first 2 shown]
	v_add_f16_e32 v27, v52, v27
	v_mul_f16_e32 v52, 0x36a6, v63
	v_mul_f16_e32 v80, 0xbbeb, v54
	v_add_f16_e32 v44, v70, v44
	v_fmamk_f16 v70, v42, 0xbbad, v75
	v_add_f16_e32 v23, v21, v23
	v_fmamk_f16 v72, v55, 0xbb47, v52
	v_mul_f16_e32 v83, 0x3b47, v62
	v_mul_f16_e32 v87, 0xb853, v26
	v_add_f16_e32 v44, v70, v44
	v_fmamk_f16 v70, v67, 0x36a6, v78
	v_add_f16_e32 v27, v72, v27
	v_mul_f16_e32 v72, 0x3482, v58
	v_add_f16_e32 v23, v32, v23
	v_add_f16_e32 v32, v40, v39
	;; [unrolled: 1-line block ×3, first 2 shown]
	v_fmamk_f16 v70, v56, 0xb08e, v80
	v_fmamk_f16 v82, v60, 0xbbad, v72
	v_mul_f16_e32 v93, 0xba0c, v58
	v_add_f16_e32 v5, v5, v32
	v_mul_f16_e32 v58, 0xbb47, v58
	v_add_f16_e32 v70, v21, v70
	v_add_f16_e32 v23, v48, v23
	;; [unrolled: 1-line block ×4, first 2 shown]
	v_mul_f16_e32 v69, 0xb08e, v29
	v_add_f16_e32 v70, v82, v70
	v_fmamk_f16 v82, v64, 0x36a6, v83
	v_mul_f16_e32 v48, 0xbbeb, v62
	v_add_f16_e32 v5, v7, v5
	v_add_f16_e32 v23, v46, v23
	v_fmamk_f16 v73, v22, 0x3beb, v69
	v_add_f16_e32 v70, v82, v70
	v_fmamk_f16 v82, v42, 0x3abb, v87
	v_add_f16_e32 v0, v0, v5
	v_mul_f16_e32 v74, 0xbbad, v45
	v_add_f16_e32 v19, v19, v23
	v_mul_f16_e32 v7, 0xba0c, v26
	;; [unrolled: 2-line block ×3, first 2 shown]
	v_mul_f16_e32 v54, 0xb853, v54
	v_add_f16_e32 v0, v1, v0
	v_add_f16_e32 v73, v39, v73
	v_fmamk_f16 v76, v4, 0xb482, v74
	v_mul_f16_e32 v77, 0x36a6, v43
	v_fmamk_f16 v40, v56, 0x3abb, v54
	v_add_f16_e32 v0, v2, v0
	v_add_f16_e32 v19, v25, v19
	v_fmamk_f16 v5, v42, 0xb93d, v7
	v_mul_f16_e32 v25, 0xb482, v66
	v_add_f16_e32 v32, v21, v40
	v_fmamk_f16 v40, v60, 0x36a6, v58
	v_add_f16_e32 v0, v3, v0
	v_fma_f16 v3, v56, 0xb93d, -v59
	v_add_f16_e32 v73, v76, v73
	v_fmamk_f16 v76, v51, 0xbb47, v77
	v_add_f16_e32 v32, v40, v32
	v_fmamk_f16 v40, v64, 0xb08e, v48
	v_add_f16_e32 v0, v17, v0
	v_add_f16_e32 v3, v21, v3
	v_fma_f16 v17, v60, 0xb08e, -v68
	v_mul_f16_e32 v79, 0x3abb, v53
	v_add_f16_e32 v23, v40, v32
	v_mul_f16_e32 v81, 0x36a6, v29
	v_add_f16_e32 v0, v18, v0
	v_add_f16_e32 v3, v17, v3
	v_fma_f16 v17, v64, 0x3abb, -v71
	v_add_f16_e32 v5, v5, v23
	v_fmamk_f16 v23, v67, 0xbbad, v25
	v_fma_f16 v18, v56, 0xb08e, -v80
	v_add_f16_e32 v73, v76, v73
	v_fmamk_f16 v76, v50, 0x3853, v79
	v_fmamk_f16 v85, v22, 0x3b47, v81
	v_mul_f16_e32 v86, 0xb93d, v45
	v_add_f16_e32 v2, v23, v5
	v_add_f16_e32 v3, v17, v3
	v_fma_f16 v17, v42, 0xbbad, -v75
	v_add_f16_e32 v18, v21, v18
	v_fma_f16 v23, v60, 0xbbad, -v72
	v_add_f16_e32 v73, v76, v73
	v_mul_f16_e32 v76, 0xb93d, v63
	v_add_f16_e32 v85, v39, v85
	v_fmamk_f16 v88, v4, 0x3a0c, v86
	v_mul_f16_e32 v89, 0xbbad, v43
	v_add_f16_e32 v3, v17, v3
	v_fma_f16 v17, v67, 0x36a6, -v78
	v_add_f16_e32 v18, v23, v18
	v_fma_f16 v23, v64, 0x36a6, -v83
	v_fmamk_f16 v84, v55, 0x3a0c, v76
	v_mul_f16_e32 v90, 0xba0c, v66
	v_add_f16_e32 v85, v88, v85
	v_fmamk_f16 v88, v51, 0xb482, v89
	v_mul_f16_e32 v91, 0xb08e, v53
	v_add_f16_e32 v3, v17, v3
	v_add_f16_e32 v17, v23, v18
	v_fma_f16 v18, v42, 0x3abb, -v87
	v_fmamk_f16 v92, v67, 0xb93d, v90
	v_add_f16_e32 v85, v88, v85
	v_fmamk_f16 v88, v50, 0xbbeb, v91
	v_add_f16_e32 v73, v84, v73
	v_fmamk_f16 v84, v56, 0x36a6, v82
	v_mul_f16_e32 v29, 0x3abb, v29
	v_fmac_f16_e32 v30, 0xba0c, v22
	v_add_f16_e32 v17, v18, v17
	v_fma_f16 v18, v56, 0x36a6, -v82
	v_add_f16_e32 v70, v92, v70
	v_add_f16_e32 v85, v88, v85
	;; [unrolled: 1-line block ×3, first 2 shown]
	v_fmamk_f16 v88, v60, 0xb93d, v93
	v_mul_f16_e32 v92, 0x3482, v62
	v_fmamk_f16 v95, v22, 0x3853, v29
	v_mul_f16_e32 v45, 0x36a6, v45
	v_add_f16_e32 v19, v47, v19
	v_mul_f16_e32 v96, 0x3beb, v26
	v_add_f16_e32 v1, v39, v30
	v_fma_f16 v26, v67, 0xb93d, -v90
	v_add_f16_e32 v18, v21, v18
	v_fma_f16 v30, v60, 0xb93d, -v93
	v_add_f16_e32 v84, v88, v84
	v_fmamk_f16 v88, v64, 0xbbad, v92
	v_add_f16_e32 v95, v39, v95
	v_fmamk_f16 v97, v4, 0x3b47, v45
	v_mul_f16_e32 v43, 0xb08e, v43
	v_fmac_f16_e32 v29, 0xb853, v22
	v_add_f16_e32 v19, v49, v19
	v_fmac_f16_e32 v69, 0xbbeb, v22
	v_fmac_f16_e32 v81, 0xbb47, v22
	v_add_f16_e32 v17, v26, v17
	v_add_f16_e32 v18, v30, v18
	v_fma_f16 v22, v64, 0xbbad, -v92
	v_fma_f16 v26, v56, 0x3abb, -v54
	v_add_f16_e32 v84, v88, v84
	v_fmamk_f16 v88, v42, 0xb08e, v96
	v_mul_f16_e32 v98, 0x3853, v66
	v_add_f16_e32 v95, v97, v95
	v_fmamk_f16 v97, v51, 0x3beb, v43
	v_mul_f16_e32 v53, 0xb93d, v53
	v_add_f16_e32 v29, v39, v29
	v_fmac_f16_e32 v45, 0xbb47, v4
	v_fmac_f16_e32 v57, 0x3beb, v4
	v_add_f16_e32 v5, v37, v19
	v_add_f16_e32 v19, v39, v69
	v_fmac_f16_e32 v74, 0x3482, v4
	v_add_f16_e32 v23, v39, v81
	v_fmac_f16_e32 v86, 0xba0c, v4
	v_add_f16_e32 v4, v22, v18
	v_add_f16_e32 v18, v21, v26
	v_fma_f16 v21, v60, 0x36a6, -v58
	v_mul_f16_e32 v94, 0x3abb, v63
	v_add_f16_e32 v84, v88, v84
	v_fmamk_f16 v88, v67, 0x3abb, v98
	v_add_f16_e32 v95, v97, v95
	v_fmamk_f16 v97, v50, 0x3a0c, v53
	v_mul_f16_e32 v63, 0xbbad, v63
	v_fma_f16 v22, v42, 0xb08e, -v96
	v_add_f16_e32 v26, v45, v29
	v_fmac_f16_e32 v43, 0xbbeb, v51
	v_add_f16_e32 v1, v57, v1
	v_fmac_f16_e32 v61, 0xb853, v51
	;; [unrolled: 2-line block ×4, first 2 shown]
	v_add_f16_e32 v18, v21, v18
	v_fma_f16 v21, v64, 0xb08e, -v48
	v_add_f16_e32 v84, v88, v84
	v_add_f16_e32 v88, v97, v95
	v_fmamk_f16 v6, v55, 0x3482, v63
	v_add_f16_e32 v4, v22, v4
	v_add_f16_e32 v22, v43, v26
	v_mov_b32_e32 v26, 0x8f
	v_add_f16_e32 v1, v61, v1
	v_fmac_f16_e32 v65, 0xb482, v50
	v_add_f16_e32 v19, v77, v19
	v_fmac_f16_e32 v79, 0xb853, v50
	;; [unrolled: 2-line block ×3, first 2 shown]
	v_fmac_f16_e32 v53, 0xba0c, v50
	v_add_f16_e32 v18, v21, v18
	v_fma_f16 v7, v42, 0xb93d, -v7
	v_fmamk_f16 v99, v55, 0xb853, v94
	v_add_f16_e32 v6, v6, v88
	v_add_f16_e32 v5, v31, v5
	v_mul_u32_u24_sdwa v26, v36, v26 dst_sel:DWORD dst_unused:UNUSED_PAD src0_sel:WORD_0 src1_sel:DWORD
	v_add_f16_e32 v1, v65, v1
	v_fmac_f16_e32 v52, 0x3b47, v55
	v_add_f16_e32 v19, v79, v19
	v_fmac_f16_e32 v76, 0xba0c, v55
	;; [unrolled: 2-line block ×3, first 2 shown]
	v_fma_f16 v21, v67, 0x3abb, -v98
	v_add_f16_e32 v22, v53, v22
	v_fmac_f16_e32 v63, 0xb482, v55
	v_add_f16_e32 v7, v7, v18
	v_fma_f16 v18, v67, 0xbbad, -v25
	v_add_f16_e32 v85, v99, v85
	v_add_lshl_u32 v25, v26, v35, 2
	v_pack_b32_f16 v0, v5, v0
	v_pack_b32_f16 v2, v2, v6
	v_add_f16_e32 v1, v52, v1
	v_add_f16_e32 v19, v76, v19
	;; [unrolled: 1-line block ×6, first 2 shown]
	ds_write2_b32 v25, v0, v2 offset1:13
	v_pack_b32_f16 v0, v84, v85
	v_pack_b32_f16 v2, v70, v73
	;; [unrolled: 1-line block ×9, first 2 shown]
	ds_write2_b32 v25, v0, v2 offset0:26 offset1:39
	ds_write2_b32 v25, v18, v21 offset0:52 offset1:65
	ds_write2_b32 v25, v20, v1 offset0:78 offset1:91
	ds_write2_b32 v25, v3, v4 offset0:104 offset1:117
	ds_write_b32 v25, v5 offset:520
.LBB0_21:
	s_or_b32 exec_lo, exec_lo, s1
	s_waitcnt lgkmcnt(0)
	s_barrier
	buffer_gl0_inv
	v_add_nc_u32_e32 v0, 0x400, v33
	ds_read2_b32 v[2:3], v33 offset1:143
	v_add_nc_u32_e32 v1, 0x800, v33
	v_add_nc_u32_e32 v17, 0xc00, v33
	v_add_nc_u32_e32 v22, 0x1100, v33
	ds_read2_b32 v[4:5], v0 offset0:30 offset1:173
	ds_read2_b32 v[6:7], v1 offset0:60 offset1:203
	;; [unrolled: 1-line block ×4, first 2 shown]
	s_waitcnt lgkmcnt(4)
	v_lshrrev_b32_e32 v24, 16, v3
	v_mul_f16_sdwa v25, v12, v3 dst_sel:DWORD dst_unused:UNUSED_PAD src0_sel:WORD_1 src1_sel:DWORD
	v_lshrrev_b32_e32 v23, 16, v2
	s_waitcnt lgkmcnt(3)
	v_lshrrev_b32_e32 v26, 16, v4
	s_waitcnt lgkmcnt(2)
	v_lshrrev_b32_e32 v28, 16, v6
	v_mul_f16_sdwa v36, v12, v24 dst_sel:DWORD dst_unused:UNUSED_PAD src0_sel:WORD_1 src1_sel:DWORD
	v_fma_f16 v24, v12, v24, -v25
	v_mul_f16_sdwa v25, v13, v4 dst_sel:DWORD dst_unused:UNUSED_PAD src0_sel:WORD_1 src1_sel:DWORD
	v_lshrrev_b32_e32 v27, 16, v5
	v_lshrrev_b32_e32 v29, 16, v7
	s_waitcnt lgkmcnt(1)
	v_lshrrev_b32_e32 v30, 16, v18
	v_fmac_f16_e32 v36, v12, v3
	v_mul_f16_sdwa v3, v13, v26 dst_sel:DWORD dst_unused:UNUSED_PAD src0_sel:WORD_1 src1_sel:DWORD
	v_fma_f16 v25, v13, v26, -v25
	v_mul_f16_sdwa v26, v15, v28 dst_sel:DWORD dst_unused:UNUSED_PAD src0_sel:WORD_1 src1_sel:DWORD
	v_lshrrev_b32_e32 v31, 16, v19
	s_waitcnt lgkmcnt(0)
	v_lshrrev_b32_e32 v32, 16, v20
	v_mul_f16_sdwa v37, v14, v5 dst_sel:DWORD dst_unused:UNUSED_PAD src0_sel:WORD_1 src1_sel:DWORD
	v_mul_f16_sdwa v39, v15, v6 dst_sel:DWORD dst_unused:UNUSED_PAD src0_sel:WORD_1 src1_sel:DWORD
	;; [unrolled: 1-line block ×3, first 2 shown]
	v_fmac_f16_e32 v3, v13, v4
	v_mul_f16_sdwa v4, v8, v29 dst_sel:DWORD dst_unused:UNUSED_PAD src0_sel:WORD_1 src1_sel:DWORD
	v_fmac_f16_e32 v26, v15, v6
	v_mul_f16_sdwa v6, v8, v7 dst_sel:DWORD dst_unused:UNUSED_PAD src0_sel:WORD_1 src1_sel:DWORD
	v_mul_f16_sdwa v13, v9, v30 dst_sel:DWORD dst_unused:UNUSED_PAD src0_sel:WORD_1 src1_sel:DWORD
	v_lshrrev_b32_e32 v35, 16, v21
	v_fma_f16 v27, v14, v27, -v37
	v_fmac_f16_e32 v12, v14, v5
	v_fmac_f16_e32 v4, v8, v7
	v_mul_f16_sdwa v7, v9, v18 dst_sel:DWORD dst_unused:UNUSED_PAD src0_sel:WORD_1 src1_sel:DWORD
	v_mul_f16_sdwa v14, v10, v31 dst_sel:DWORD dst_unused:UNUSED_PAD src0_sel:WORD_1 src1_sel:DWORD
	v_fma_f16 v6, v8, v29, -v6
	v_fmac_f16_e32 v13, v9, v18
	v_mul_f16_sdwa v8, v11, v20 dst_sel:DWORD dst_unused:UNUSED_PAD src0_sel:WORD_1 src1_sel:DWORD
	v_mul_f16_sdwa v18, v11, v32 dst_sel:DWORD dst_unused:UNUSED_PAD src0_sel:WORD_1 src1_sel:DWORD
	v_fma_f16 v5, v15, v28, -v39
	v_fma_f16 v7, v9, v30, -v7
	v_fmac_f16_e32 v14, v10, v19
	v_mul_f16_sdwa v9, v10, v19 dst_sel:DWORD dst_unused:UNUSED_PAD src0_sel:WORD_1 src1_sel:DWORD
	v_add_f16_e32 v15, v26, v13
	v_fma_f16 v8, v11, v32, -v8
	v_mul_f16_sdwa v19, v38, v35 dst_sel:DWORD dst_unused:UNUSED_PAD src0_sel:WORD_1 src1_sel:DWORD
	v_fmac_f16_e32 v18, v11, v20
	v_add_f16_e32 v28, v2, v3
	v_fma_f16 v15, -0.5, v15, v2
	v_sub_f16_e32 v29, v25, v8
	v_fma_f16 v9, v10, v31, -v9
	v_fmac_f16_e32 v19, v38, v21
	v_add_f16_e32 v31, v3, v18
	v_mul_f16_sdwa v21, v38, v21 dst_sel:DWORD dst_unused:UNUSED_PAD src0_sel:WORD_1 src1_sel:DWORD
	v_add_f16_e32 v10, v28, v26
	v_fmamk_f16 v11, v29, 0xbb9c, v15
	v_sub_f16_e32 v20, v5, v7
	v_sub_f16_e32 v28, v3, v26
	;; [unrolled: 1-line block ×3, first 2 shown]
	v_fmac_f16_e32 v2, -0.5, v31
	v_fma_f16 v21, v38, v35, -v21
	v_fmac_f16_e32 v15, 0x3b9c, v29
	v_add_f16_e32 v35, v23, v25
	v_add_f16_e32 v10, v10, v13
	v_fmac_f16_e32 v11, 0xb8b4, v20
	v_add_f16_e32 v28, v28, v30
	v_fmamk_f16 v30, v20, 0x3b9c, v2
	v_fmac_f16_e32 v15, 0x38b4, v20
	v_fmac_f16_e32 v2, 0xbb9c, v20
	v_add_f16_e32 v20, v35, v5
	v_add_f16_e32 v10, v10, v18
	v_fmac_f16_e32 v11, 0x34f2, v28
	v_sub_f16_e32 v31, v26, v3
	v_sub_f16_e32 v32, v13, v18
	v_add_f16_e32 v37, v5, v7
	v_sub_f16_e32 v3, v3, v18
	v_fmac_f16_e32 v15, 0x34f2, v28
	v_add_f16_e32 v18, v20, v7
	v_add_f16_e32 v28, v25, v8
	v_fmac_f16_e32 v30, 0xb8b4, v29
	v_add_f16_e32 v31, v31, v32
	v_fma_f16 v32, -0.5, v37, v23
	v_fmac_f16_e32 v2, 0x38b4, v29
	v_sub_f16_e32 v13, v26, v13
	v_sub_f16_e32 v26, v25, v5
	;; [unrolled: 1-line block ×3, first 2 shown]
	v_fmac_f16_e32 v23, -0.5, v28
	v_add_f16_e32 v18, v18, v8
	v_sub_f16_e32 v5, v5, v25
	v_sub_f16_e32 v7, v7, v8
	v_add_f16_e32 v8, v36, v12
	v_fmamk_f16 v28, v13, 0xbb9c, v23
	v_fmac_f16_e32 v23, 0x3b9c, v13
	v_fmamk_f16 v20, v3, 0x3b9c, v32
	v_add_f16_e32 v5, v5, v7
	v_add_f16_e32 v7, v8, v4
	;; [unrolled: 1-line block ×3, first 2 shown]
	v_fmac_f16_e32 v32, 0xbb9c, v3
	v_fmac_f16_e32 v28, 0x38b4, v3
	;; [unrolled: 1-line block ×3, first 2 shown]
	v_add_f16_e32 v3, v7, v14
	v_fma_f16 v7, -0.5, v8, v36
	v_add_f16_e32 v8, v12, v19
	v_fmac_f16_e32 v20, 0x38b4, v13
	v_fmac_f16_e32 v32, 0xb8b4, v13
	v_sub_f16_e32 v13, v27, v21
	v_fmac_f16_e32 v28, 0x34f2, v5
	v_fmac_f16_e32 v23, 0x34f2, v5
	v_sub_f16_e32 v5, v6, v9
	v_fmac_f16_e32 v36, -0.5, v8
	v_add_f16_e32 v26, v26, v29
	v_fmamk_f16 v8, v13, 0xbb9c, v7
	v_fmac_f16_e32 v7, 0x3b9c, v13
	v_sub_f16_e32 v25, v12, v4
	v_fmamk_f16 v29, v5, 0x3b9c, v36
	v_fmac_f16_e32 v36, 0xbb9c, v5
	v_fmac_f16_e32 v20, 0x34f2, v26
	;; [unrolled: 1-line block ×3, first 2 shown]
	v_sub_f16_e32 v26, v19, v14
	v_fmac_f16_e32 v8, 0xb8b4, v5
	v_fmac_f16_e32 v7, 0x38b4, v5
	v_add_f16_e32 v5, v6, v9
	v_fmac_f16_e32 v30, 0x34f2, v31
	v_fmac_f16_e32 v2, 0x34f2, v31
	v_sub_f16_e32 v31, v4, v12
	v_sub_f16_e32 v35, v14, v19
	v_fmac_f16_e32 v29, 0xb8b4, v13
	v_fmac_f16_e32 v36, 0x38b4, v13
	v_add_f16_e32 v13, v27, v21
	v_add_f16_e32 v25, v25, v26
	v_fma_f16 v5, -0.5, v5, v24
	v_sub_f16_e32 v12, v12, v19
	v_add_f16_e32 v3, v3, v19
	v_add_f16_e32 v26, v31, v35
	v_add_f16_e32 v19, v24, v27
	v_sub_f16_e32 v4, v4, v14
	v_fmac_f16_e32 v24, -0.5, v13
	v_fmac_f16_e32 v8, 0x34f2, v25
	v_fmac_f16_e32 v7, 0x34f2, v25
	v_fmamk_f16 v13, v12, 0x3b9c, v5
	v_sub_f16_e32 v14, v27, v6
	v_sub_f16_e32 v25, v21, v9
	v_fmac_f16_e32 v29, 0x34f2, v26
	v_fmac_f16_e32 v36, 0x34f2, v26
	v_fmamk_f16 v26, v4, 0xbb9c, v24
	v_sub_f16_e32 v27, v6, v27
	v_sub_f16_e32 v31, v9, v21
	v_fmac_f16_e32 v24, 0x3b9c, v4
	v_fmac_f16_e32 v5, 0xbb9c, v12
	;; [unrolled: 1-line block ×3, first 2 shown]
	v_add_f16_e32 v14, v14, v25
	v_fmac_f16_e32 v26, 0x38b4, v12
	v_add_f16_e32 v25, v27, v31
	v_fmac_f16_e32 v24, 0xb8b4, v12
	v_fmac_f16_e32 v5, 0xb8b4, v4
	v_add_f16_e32 v6, v19, v6
	v_fmac_f16_e32 v13, 0x34f2, v14
	v_fmac_f16_e32 v26, 0x34f2, v25
	;; [unrolled: 1-line block ×4, first 2 shown]
	v_add_f16_e32 v4, v6, v9
	v_mul_f16_e32 v6, 0xb8b4, v13
	v_mul_f16_e32 v13, 0x3a79, v13
	;; [unrolled: 1-line block ×8, first 2 shown]
	v_add_f16_e32 v4, v4, v21
	v_fmac_f16_e32 v6, 0x3a79, v8
	v_fmac_f16_e32 v13, 0x38b4, v8
	v_fmac_f16_e32 v9, 0x34f2, v29
	v_fmac_f16_e32 v12, 0xb4f2, v36
	v_fmac_f16_e32 v26, 0x3b9c, v29
	v_fmac_f16_e32 v24, 0x3b9c, v36
	v_fmac_f16_e32 v14, 0xba79, v7
	v_fmac_f16_e32 v5, 0x38b4, v7
	v_add_f16_e32 v19, v10, v3
	v_add_f16_e32 v21, v11, v6
	;; [unrolled: 1-line block ×10, first 2 shown]
	v_sub_f16_e32 v3, v10, v3
	v_sub_f16_e32 v4, v18, v4
	;; [unrolled: 1-line block ×10, first 2 shown]
	v_pack_b32_f16 v7, v19, v7
	v_pack_b32_f16 v8, v21, v8
	v_pack_b32_f16 v14, v25, v29
	v_pack_b32_f16 v15, v27, v35
	v_pack_b32_f16 v18, v31, v36
	v_pack_b32_f16 v3, v3, v4
	v_pack_b32_f16 v4, v6, v11
	v_pack_b32_f16 v6, v9, v12
	v_pack_b32_f16 v2, v2, v13
	v_pack_b32_f16 v5, v10, v5
	ds_write2_b32 v33, v7, v8 offset1:143
	ds_write2_b32 v0, v14, v15 offset0:30 offset1:173
	ds_write2_b32 v1, v18, v3 offset0:60 offset1:203
	;; [unrolled: 1-line block ×4, first 2 shown]
	s_waitcnt lgkmcnt(0)
	s_barrier
	buffer_gl0_inv
	s_and_b32 exec_lo, exec_lo, vcc_lo
	s_cbranch_execz .LBB0_23
; %bb.22:
	s_clause 0x4
	global_load_dword v12, v33, s[14:15]
	global_load_dword v13, v33, s[14:15] offset:440
	global_load_dword v18, v33, s[14:15] offset:880
	global_load_dword v19, v33, s[14:15] offset:1320
	global_load_dword v21, v33, s[14:15] offset:1760
	v_add_co_u32 v14, s0, s14, v33
	v_add_co_ci_u32_e64 v15, null, s15, 0, s0
	ds_read_b32 v24, v33
	v_add_co_u32 v26, vcc_lo, 0x800, v14
	v_add_co_ci_u32_e32 v27, vcc_lo, 0, v15, vcc_lo
	ds_read2_b32 v[4:5], v33 offset0:110 offset1:220
	v_mad_u64_u32 v[10:11], null, s6, v16, 0
	global_load_dword v23, v[26:27], off offset:152
	ds_read2_b32 v[6:7], v0 offset0:74 offset1:184
	ds_read2_b32 v[2:3], v1 offset0:38 offset1:148
	v_mad_u64_u32 v[8:9], null, s4, v34, 0
	v_add_co_u32 v0, vcc_lo, 0x1000, v14
	v_add_co_ci_u32_e32 v1, vcc_lo, 0, v15, vcc_lo
	s_mov_b32 s18, 0xd118b474
	s_mov_b32 s19, 0x3f46ea28
	s_mul_i32 s0, s5, 0x1b8
	s_mul_hi_u32 s20, s4, 0x1b8
	s_mul_i32 s17, s4, 0x1b8
	s_add_i32 s20, s20, s0
	s_waitcnt lgkmcnt(0)
	v_lshrrev_b32_e32 v32, 16, v2
	s_waitcnt vmcnt(5)
	v_mad_u64_u32 v[28:29], null, s7, v16, v[11:12]
	s_clause 0x5
	global_load_dword v25, v[26:27], off offset:592
	global_load_dword v22, v[26:27], off offset:1032
	global_load_dword v20, v[26:27], off offset:1472
	global_load_dword v16, v[26:27], off offset:1912
	global_load_dword v14, v[0:1], off offset:304
	global_load_dword v15, v[0:1], off offset:744
	v_lshrrev_b32_e32 v26, 16, v24
	v_mad_u64_u32 v[29:30], null, s5, v34, v[9:10]
	v_lshrrev_b32_e32 v27, 16, v4
	v_mul_f16_sdwa v34, v24, v12 dst_sel:DWORD dst_unused:UNUSED_PAD src0_sel:DWORD src1_sel:WORD_1
	v_mul_f16_sdwa v31, v26, v12 dst_sel:DWORD dst_unused:UNUSED_PAD src0_sel:DWORD src1_sel:WORD_1
	v_mov_b32_e32 v11, v28
	v_lshrrev_b32_e32 v28, 16, v5
	s_waitcnt vmcnt(10)
	v_mul_f16_sdwa v35, v27, v13 dst_sel:DWORD dst_unused:UNUSED_PAD src0_sel:DWORD src1_sel:WORD_1
	v_mov_b32_e32 v9, v29
	v_lshrrev_b32_e32 v29, 16, v6
	v_fmac_f16_e32 v31, v24, v12
	v_lshrrev_b32_e32 v30, 16, v7
	v_mul_f16_sdwa v36, v4, v13 dst_sel:DWORD dst_unused:UNUSED_PAD src0_sel:DWORD src1_sel:WORD_1
	s_waitcnt vmcnt(9)
	v_mul_f16_sdwa v37, v28, v18 dst_sel:DWORD dst_unused:UNUSED_PAD src0_sel:DWORD src1_sel:WORD_1
	s_waitcnt vmcnt(8)
	v_mul_f16_sdwa v39, v29, v19 dst_sel:DWORD dst_unused:UNUSED_PAD src0_sel:DWORD src1_sel:WORD_1
	v_fma_f16 v12, v12, v26, -v34
	v_fmac_f16_e32 v35, v4, v13
	v_cvt_f32_f16_e32 v4, v31
	v_mul_f16_sdwa v38, v5, v18 dst_sel:DWORD dst_unused:UNUSED_PAD src0_sel:DWORD src1_sel:WORD_1
	v_mul_f16_sdwa v40, v6, v19 dst_sel:DWORD dst_unused:UNUSED_PAD src0_sel:DWORD src1_sel:WORD_1
	s_waitcnt vmcnt(7)
	v_mul_f16_sdwa v41, v30, v21 dst_sel:DWORD dst_unused:UNUSED_PAD src0_sel:DWORD src1_sel:WORD_1
	v_fmac_f16_e32 v37, v5, v18
	v_fmac_f16_e32 v39, v6, v19
	v_cvt_f32_f16_e32 v6, v12
	v_cvt_f64_f32_e32 v[4:5], v4
	v_mul_f16_sdwa v42, v7, v21 dst_sel:DWORD dst_unused:UNUSED_PAD src0_sel:DWORD src1_sel:WORD_1
	v_fma_f16 v13, v13, v27, -v36
	v_fmac_f16_e32 v41, v7, v21
	v_cvt_f32_f16_e32 v12, v35
	v_cvt_f64_f32_e32 v[6:7], v6
	v_fma_f16 v18, v18, v28, -v38
	v_fma_f16 v19, v19, v29, -v40
	v_cvt_f32_f16_e32 v24, v13
	v_cvt_f64_f32_e32 v[12:13], v12
	v_cvt_f32_f16_e32 v26, v37
	v_cvt_f32_f16_e32 v28, v18
	;; [unrolled: 1-line block ×3, first 2 shown]
	v_cvt_f64_f32_e32 v[18:19], v24
	v_lshlrev_b64 v[10:11], 2, v[10:11]
	s_waitcnt vmcnt(6)
	v_mul_f16_sdwa v31, v32, v23 dst_sel:DWORD dst_unused:UNUSED_PAD src0_sel:DWORD src1_sel:WORD_1
	v_cvt_f64_f32_e32 v[26:27], v26
	v_lshlrev_b64 v[8:9], 2, v[8:9]
	v_fma_f16 v21, v21, v30, -v42
	v_cvt_f32_f16_e32 v30, v39
	v_fmac_f16_e32 v31, v2, v23
	v_cvt_f64_f32_e32 v[28:29], v28
	v_mul_f64 v[4:5], v[4:5], s[18:19]
	v_add_co_u32 v10, vcc_lo, s12, v10
	v_add_co_ci_u32_e32 v11, vcc_lo, s13, v11, vcc_lo
	v_mul_f64 v[6:7], v[6:7], s[18:19]
	v_mul_f16_sdwa v2, v2, v23 dst_sel:DWORD dst_unused:UNUSED_PAD src0_sel:DWORD src1_sel:WORD_1
	v_cvt_f32_f16_e32 v40, v31
	v_cvt_f64_f32_e32 v[30:31], v30
	v_add_co_u32 v8, vcc_lo, v10, v8
	v_mul_f64 v[12:13], v[12:13], s[18:19]
	v_add_co_ci_u32_e32 v9, vcc_lo, v11, v9, vcc_lo
	v_fma_f16 v2, v23, v32, -v2
	v_cvt_f32_f16_e32 v24, v41
	v_cvt_f64_f32_e32 v[34:35], v34
	v_add_co_u32 v10, vcc_lo, v8, s17
	v_mul_f64 v[18:19], v[18:19], s[18:19]
	v_add_co_ci_u32_e32 v11, vcc_lo, s20, v9, vcc_lo
	v_cvt_f32_f16_e32 v2, v2
	v_cvt_f32_f16_e32 v21, v21
	v_cvt_f64_f32_e32 v[36:37], v24
	v_add_co_u32 v23, vcc_lo, v10, s17
	v_mul_f64 v[26:27], v[26:27], s[18:19]
	v_add_co_ci_u32_e32 v24, vcc_lo, s20, v11, vcc_lo
	v_cvt_f64_f32_e32 v[44:45], v2
	v_and_or_b32 v2, 0x1ff, v5, v4
	v_cvt_f64_f32_e32 v[38:39], v21
	v_add_co_u32 v42, vcc_lo, v23, s17
	v_mul_f64 v[28:29], v[28:29], s[18:19]
	v_add_co_ci_u32_e32 v43, vcc_lo, s20, v24, vcc_lo
	v_and_or_b32 v6, 0x1ff, v7, v6
	v_cmp_ne_u32_e32 vcc_lo, 0, v2
	v_mul_f64 v[30:31], v[30:31], s[18:19]
	v_and_or_b32 v12, 0x1ff, v13, v12
	v_mul_f64 v[34:35], v[34:35], s[18:19]
	v_and_or_b32 v18, 0x1ff, v19, v18
	v_cndmask_b32_e64 v2, 0, 1, vcc_lo
	v_cmp_ne_u32_e32 vcc_lo, 0, v6
	v_mul_f64 v[36:37], v[36:37], s[18:19]
	v_lshrrev_b32_e32 v4, 8, v5
	v_bfe_u32 v21, v5, 20, 11
	v_and_or_b32 v26, 0x1ff, v27, v26
	v_cndmask_b32_e64 v6, 0, 1, vcc_lo
	v_cmp_ne_u32_e32 vcc_lo, 0, v12
	v_lshrrev_b32_e32 v32, 8, v7
	v_bfe_u32 v46, v7, 20, 11
	v_mul_f64 v[38:39], v[38:39], s[18:19]
	v_and_or_b32 v2, 0xffe, v4, v2
	v_cndmask_b32_e64 v12, 0, 1, vcc_lo
	v_cmp_ne_u32_e32 vcc_lo, 0, v18
	v_and_or_b32 v28, 0x1ff, v29, v28
	v_lshrrev_b32_e32 v47, 8, v13
	v_bfe_u32 v48, v13, 20, 11
	v_bfe_u32 v50, v19, 20, 11
	v_cndmask_b32_e64 v18, 0, 1, vcc_lo
	v_cmp_ne_u32_e32 vcc_lo, 0, v26
	v_and_or_b32 v30, 0x1ff, v31, v30
	v_and_or_b32 v34, 0x1ff, v35, v34
	v_sub_nc_u32_e32 v63, 0x3f1, v21
	v_add_nc_u32_e32 v21, 0xfffffc10, v21
	v_cndmask_b32_e64 v26, 0, 1, vcc_lo
	v_cmp_ne_u32_e32 vcc_lo, 0, v28
	v_and_or_b32 v36, 0x1ff, v37, v36
	v_sub_nc_u32_e32 v64, 0x3f1, v46
	v_and_or_b32 v6, 0xffe, v32, v6
	v_lshrrev_b32_e32 v49, 8, v19
	v_cndmask_b32_e64 v28, 0, 1, vcc_lo
	v_cmp_ne_u32_e32 vcc_lo, 0, v30
	v_and_or_b32 v38, 0x1ff, v39, v38
	v_bfe_u32 v52, v27, 20, 11
	v_bfe_u32 v54, v29, 20, 11
	v_add_nc_u32_e32 v46, 0xfffffc10, v46
	v_cndmask_b32_e64 v30, 0, 1, vcc_lo
	v_cmp_ne_u32_e32 vcc_lo, 0, v34
	v_sub_nc_u32_e32 v65, 0x3f1, v48
	v_sub_nc_u32_e32 v66, 0x3f1, v50
	v_med3_i32 v4, v63, 0, 13
	v_med3_i32 v32, v64, 0, 13
	v_cndmask_b32_e64 v34, 0, 1, vcc_lo
	v_cmp_ne_u32_e32 vcc_lo, 0, v36
	v_and_or_b32 v12, 0xffe, v47, v12
	v_or_b32_e32 v63, 0x1000, v2
	v_lshl_or_b32 v64, v21, 12, v2
	v_lshrrev_b32_e32 v51, 8, v27
	v_cndmask_b32_e64 v36, 0, 1, vcc_lo
	v_cmp_ne_u32_e32 vcc_lo, 0, v38
	v_lshrrev_b32_e32 v53, 8, v29
	v_bfe_u32 v56, v31, 20, 11
	v_bfe_u32 v58, v35, 20, 11
	v_add_nc_u32_e32 v48, 0xfffffc10, v48
	v_cndmask_b32_e64 v38, 0, 1, vcc_lo
	v_cmp_ne_u32_e32 vcc_lo, 0, v2
	v_sub_nc_u32_e32 v67, 0x3f1, v52
	v_sub_nc_u32_e32 v68, 0x3f1, v54
	v_med3_i32 v47, v65, 0, 13
	v_and_or_b32 v18, 0xffe, v49, v18
	v_cndmask_b32_e64 v2, 0, 1, vcc_lo
	v_cmp_ne_u32_e32 vcc_lo, 0, v6
	v_med3_i32 v49, v66, 0, 13
	v_or_b32_e32 v65, 0x1000, v6
	v_lshl_or_b32 v66, v46, 12, v6
	v_lshrrev_b32_e32 v55, 8, v31
	v_cndmask_b32_e64 v6, 0, 1, vcc_lo
	v_cmp_ne_u32_e32 vcc_lo, 0, v12
	v_lshrrev_b32_e32 v57, 8, v35
	v_bfe_u32 v60, v37, 20, 11
	v_bfe_u32 v62, v39, 20, 11
	v_add_nc_u32_e32 v50, 0xfffffc10, v50
	v_sub_nc_u32_e32 v69, 0x3f1, v56
	v_sub_nc_u32_e32 v70, 0x3f1, v58
	v_and_or_b32 v26, 0xffe, v51, v26
	v_med3_i32 v51, v67, 0, 13
	v_and_or_b32 v28, 0xffe, v53, v28
	v_med3_i32 v53, v68, 0, 13
	v_or_b32_e32 v67, 0x1000, v12
	v_lshl_or_b32 v68, v48, 12, v12
	v_cndmask_b32_e64 v12, 0, 1, vcc_lo
	v_cmp_ne_u32_e32 vcc_lo, 0, v18
	v_lshrrev_b32_e32 v59, 8, v37
	v_lshrrev_b32_e32 v61, 8, v39
	v_add_nc_u32_e32 v52, 0xfffffc10, v52
	v_sub_nc_u32_e32 v71, 0x3f1, v60
	v_sub_nc_u32_e32 v72, 0x3f1, v62
	v_and_or_b32 v30, 0xffe, v55, v30
	v_med3_i32 v55, v69, 0, 13
	v_and_or_b32 v34, 0xffe, v57, v34
	v_med3_i32 v57, v70, 0, 13
	v_or_b32_e32 v69, 0x1000, v18
	v_lshl_or_b32 v70, v50, 12, v18
	v_cndmask_b32_e64 v18, 0, 1, vcc_lo
	v_cmp_ne_u32_e32 vcc_lo, 0, v26
	v_add_nc_u32_e32 v54, 0xfffffc10, v54
	v_and_or_b32 v36, 0xffe, v59, v36
	v_med3_i32 v59, v71, 0, 13
	v_and_or_b32 v38, 0xffe, v61, v38
	v_med3_i32 v61, v72, 0, 13
	v_or_b32_e32 v71, 0x1000, v26
	v_lshl_or_b32 v72, v52, 12, v26
	v_cndmask_b32_e64 v26, 0, 1, vcc_lo
	v_cmp_ne_u32_e32 vcc_lo, 0, v28
	v_add_nc_u32_e32 v56, 0xfffffc10, v56
	v_or_b32_e32 v73, 0x1000, v28
	v_lshl_or_b32 v74, v54, 12, v28
	v_add_nc_u32_e32 v58, 0xfffffc10, v58
	v_cndmask_b32_e64 v28, 0, 1, vcc_lo
	v_cmp_ne_u32_e32 vcc_lo, 0, v30
	v_or_b32_e32 v75, 0x1000, v30
	v_lshl_or_b32 v76, v56, 12, v30
	v_lshrrev_b32_e32 v83, v4, v63
	v_add_nc_u32_e32 v60, 0xfffffc10, v60
	v_cndmask_b32_e64 v30, 0, 1, vcc_lo
	v_cmp_ne_u32_e32 vcc_lo, 0, v34
	v_or_b32_e32 v77, 0x1000, v34
	v_lshl_or_b32 v78, v58, 12, v34
	v_lshrrev_b32_e32 v84, v32, v65
	v_lshlrev_b32_e32 v4, v4, v83
	v_cndmask_b32_e64 v34, 0, 1, vcc_lo
	v_cmp_ne_u32_e32 vcc_lo, 0, v36
	v_or_b32_e32 v79, 0x1000, v36
	v_lshl_or_b32 v80, v60, 12, v36
	v_lshrrev_b32_e32 v85, v47, v67
	v_lshlrev_b32_e32 v32, v32, v84
	v_cndmask_b32_e64 v36, 0, 1, vcc_lo
	v_cmp_ne_u32_e32 vcc_lo, v4, v63
	v_lshrrev_b32_e32 v86, v49, v69
	v_lshlrev_b32_e32 v47, v47, v85
	v_lshrrev_b32_e32 v87, v51, v71
	v_lshrrev_b32_e32 v88, v53, v73
	v_cndmask_b32_e64 v4, 0, 1, vcc_lo
	v_cmp_ne_u32_e32 vcc_lo, v32, v65
	v_lshlrev_b32_e32 v49, v49, v86
	v_lshlrev_b32_e32 v51, v51, v87
	v_lshrrev_b32_e32 v89, v55, v75
	v_lshlrev_b32_e32 v53, v53, v88
	v_cndmask_b32_e64 v32, 0, 1, vcc_lo
	v_cmp_ne_u32_e32 vcc_lo, v47, v67
	v_lshrrev_b32_e32 v90, v57, v77
	v_lshlrev_b32_e32 v55, v55, v89
	v_or_b32_e32 v81, 0x1000, v38
	v_lshrrev_b32_e32 v91, v59, v79
	v_cndmask_b32_e64 v47, 0, 1, vcc_lo
	v_cmp_ne_u32_e32 vcc_lo, v49, v69
	v_lshlrev_b32_e32 v57, v57, v90
	v_lshrrev_b32_e32 v92, v61, v81
	v_lshlrev_b32_e32 v59, v59, v91
	v_or_b32_e32 v4, v83, v4
	v_cndmask_b32_e64 v49, 0, 1, vcc_lo
	v_cmp_ne_u32_e32 vcc_lo, v51, v71
	v_lshlrev_b32_e32 v61, v61, v92
	v_or_b32_e32 v32, v84, v32
	v_or_b32_e32 v47, v85, v47
	;; [unrolled: 1-line block ×3, first 2 shown]
	v_cndmask_b32_e64 v51, 0, 1, vcc_lo
	v_cmp_ne_u32_e32 vcc_lo, v53, v73
	v_add_nc_u32_e32 v62, 0xfffffc10, v62
	v_cvt_f64_f32_e32 v[40:41], v40
	v_lshl_or_b32 v2, v2, 9, 0x7c00
	v_or_b32_e32 v51, v87, v51
	v_cndmask_b32_e64 v53, 0, 1, vcc_lo
	v_cmp_ne_u32_e32 vcc_lo, v55, v75
	v_lshl_or_b32 v82, v62, 12, v38
	v_lshl_or_b32 v6, v6, 9, 0x7c00
	;; [unrolled: 1-line block ×3, first 2 shown]
	v_or_b32_e32 v53, v88, v53
	v_cndmask_b32_e64 v55, 0, 1, vcc_lo
	v_cmp_ne_u32_e32 vcc_lo, v57, v77
	v_lshl_or_b32 v18, v18, 9, 0x7c00
	v_lshl_or_b32 v26, v26, 9, 0x7c00
	;; [unrolled: 1-line block ×3, first 2 shown]
	v_or_b32_e32 v55, v89, v55
	v_cndmask_b32_e64 v57, 0, 1, vcc_lo
	v_cmp_ne_u32_e32 vcc_lo, v59, v79
	v_lshrrev_b32_e32 v5, 16, v5
	v_lshrrev_b32_e32 v13, 16, v13
	v_lshl_or_b32 v30, v30, 9, 0x7c00
	v_or_b32_e32 v57, v90, v57
	v_cndmask_b32_e64 v59, 0, 1, vcc_lo
	v_cmp_ne_u32_e32 vcc_lo, v61, v81
	v_mul_f64 v[40:41], v[40:41], s[18:19]
	v_lshrrev_b32_e32 v7, 16, v7
	v_lshrrev_b32_e32 v19, 16, v19
	v_or_b32_e32 v59, v91, v59
	v_cndmask_b32_e64 v61, 0, 1, vcc_lo
	v_cmp_gt_i32_e32 vcc_lo, 1, v21
	v_lshl_or_b32 v34, v34, 9, 0x7c00
	v_lshrrev_b32_e32 v31, 16, v31
	v_lshrrev_b32_e32 v27, 16, v27
	v_or_b32_e32 v61, v92, v61
	v_cndmask_b32_e32 v4, v64, v4, vcc_lo
	v_cmp_gt_i32_e32 vcc_lo, 1, v46
	v_lshrrev_b32_e32 v35, 16, v35
	v_lshl_or_b32 v36, v36, 9, 0x7c00
	v_lshrrev_b32_e32 v29, 16, v29
	v_and_b32_e32 v63, 7, v4
	v_cndmask_b32_e32 v32, v66, v32, vcc_lo
	v_cmp_gt_i32_e32 vcc_lo, 1, v48
	v_lshrrev_b32_e32 v4, 2, v4
	v_cmp_eq_u32_e64 s0, 3, v63
	v_and_b32_e32 v64, 7, v32
	v_cndmask_b32_e32 v47, v68, v47, vcc_lo
	v_cmp_gt_i32_e32 vcc_lo, 1, v50
	v_lshrrev_b32_e32 v32, 2, v32
	v_and_or_b32 v40, 0x1ff, v41, v40
	v_cmp_lt_i32_e64 s1, 5, v64
	v_and_b32_e32 v65, 7, v47
	v_cndmask_b32_e32 v49, v70, v49, vcc_lo
	v_cmp_gt_i32_e32 vcc_lo, 1, v52
	v_cmp_eq_u32_e64 s2, 3, v64
	v_lshrrev_b32_e32 v47, 2, v47
	v_cmp_lt_i32_e64 s3, 5, v65
	v_and_b32_e32 v66, 7, v49
	v_cndmask_b32_e32 v51, v72, v51, vcc_lo
	v_cmp_gt_i32_e32 vcc_lo, 1, v54
	v_cmp_eq_u32_e64 s4, 3, v65
	v_lshrrev_b32_e32 v49, 2, v49
	;; [unrolled: 6-line block ×6, first 2 shown]
	v_cmp_lt_i32_e64 s13, 5, v70
	v_and_b32_e32 v71, 7, v59
	v_cndmask_b32_e32 v61, v82, v61, vcc_lo
	v_cmp_lt_i32_e32 vcc_lo, 5, v63
	v_cmp_eq_u32_e64 s14, 3, v70
	v_lshrrev_b32_e32 v59, 2, v59
	v_cmp_lt_i32_e64 s15, 5, v71
	v_cmp_eq_u32_e64 s16, 3, v71
	s_or_b32 vcc_lo, s0, vcc_lo
	v_and_b32_e32 v72, 7, v61
	v_add_co_ci_u32_e32 v4, vcc_lo, 0, v4, vcc_lo
	s_or_b32 vcc_lo, s2, s1
	v_add_co_ci_u32_e32 v32, vcc_lo, 0, v32, vcc_lo
	s_or_b32 vcc_lo, s4, s3
	v_cmp_eq_u32_e64 s0, 3, v72
	v_add_co_ci_u32_e32 v47, vcc_lo, 0, v47, vcc_lo
	s_or_b32 vcc_lo, s6, s5
	v_add_co_ci_u32_e32 v49, vcc_lo, 0, v49, vcc_lo
	s_or_b32 vcc_lo, s8, s7
	;; [unrolled: 2-line block ×6, first 2 shown]
	v_add_co_ci_u32_e32 v59, vcc_lo, 0, v59, vcc_lo
	v_cmp_gt_i32_e32 vcc_lo, 31, v21
	v_cndmask_b32_e32 v4, 0x7c00, v4, vcc_lo
	v_cmp_gt_i32_e32 vcc_lo, 31, v46
	v_cndmask_b32_e32 v32, 0x7c00, v32, vcc_lo
	v_cmp_gt_i32_e32 vcc_lo, 31, v48
	v_cndmask_b32_e32 v47, 0x7c00, v47, vcc_lo
	v_cmp_gt_i32_e32 vcc_lo, 31, v50
	v_cndmask_b32_e32 v49, 0x7c00, v49, vcc_lo
	v_cmp_gt_i32_e32 vcc_lo, 31, v52
	v_cndmask_b32_e32 v51, 0x7c00, v51, vcc_lo
	v_cmp_gt_i32_e32 vcc_lo, 31, v54
	v_cndmask_b32_e32 v53, 0x7c00, v53, vcc_lo
	v_cmp_gt_i32_e32 vcc_lo, 31, v56
	v_cndmask_b32_e32 v55, 0x7c00, v55, vcc_lo
	v_cmp_gt_i32_e32 vcc_lo, 31, v58
	v_cndmask_b32_e32 v57, 0x7c00, v57, vcc_lo
	v_cmp_eq_u32_e32 vcc_lo, 0x40f, v21
	v_cndmask_b32_e32 v2, v4, v2, vcc_lo
	v_cmp_eq_u32_e32 vcc_lo, 0x40f, v46
	v_and_or_b32 v2, 0x8000, v5, v2
	v_cndmask_b32_e32 v4, v32, v6, vcc_lo
	v_cmp_eq_u32_e32 vcc_lo, 0x40f, v48
	v_and_b32_e32 v2, 0xffff, v2
	v_and_or_b32 v4, 0x8000, v7, v4
	v_cndmask_b32_e32 v6, v47, v12, vcc_lo
	v_cmp_eq_u32_e32 vcc_lo, 0x40f, v50
	v_lshl_or_b32 v2, v4, 16, v2
	v_and_or_b32 v5, 0x8000, v13, v6
	v_cndmask_b32_e32 v12, v49, v18, vcc_lo
	v_cmp_eq_u32_e32 vcc_lo, 0x40f, v52
	v_and_b32_e32 v5, 0xffff, v5
	v_and_or_b32 v6, 0x8000, v19, v12
	v_cndmask_b32_e32 v18, v51, v26, vcc_lo
	v_cmp_eq_u32_e32 vcc_lo, 0x40f, v54
	v_lshl_or_b32 v4, v6, 16, v5
	global_store_dword v[8:9], v2, off
	global_store_dword v[10:11], v4, off
	v_cndmask_b32_e32 v21, v53, v28, vcc_lo
	v_cmp_eq_u32_e32 vcc_lo, 0x40f, v56
	v_and_or_b32 v7, 0x8000, v27, v18
	v_lshrrev_b32_e32 v4, 8, v41
	v_bfe_u32 v8, v41, 20, 11
	v_lshrrev_b32_e32 v10, 2, v61
	v_cndmask_b32_e32 v26, v55, v30, vcc_lo
	v_cmp_eq_u32_e32 vcc_lo, 0x40f, v58
	v_lshrrev_b32_e32 v9, 16, v3
	v_and_or_b32 v12, 0x8000, v29, v21
	v_and_b32_e32 v7, 0xffff, v7
	v_and_or_b32 v13, 0x8000, v31, v26
	v_cndmask_b32_e32 v28, v57, v34, vcc_lo
	v_cmp_gt_i32_e32 vcc_lo, 31, v60
	s_waitcnt vmcnt(5)
	v_mul_f16_sdwa v19, v9, v25 dst_sel:DWORD dst_unused:UNUSED_PAD src0_sel:DWORD src1_sel:WORD_1
	v_lshl_or_b32 v12, v12, 16, v7
	v_and_b32_e32 v13, 0xffff, v13
	v_and_or_b32 v18, 0x8000, v35, v28
	v_cndmask_b32_e32 v5, 0x7c00, v59, vcc_lo
	v_cmp_ne_u32_e32 vcc_lo, 0, v40
	v_lshrrev_b32_e32 v7, 16, v37
	v_fmac_f16_e32 v19, v3, v25
	v_lshl_or_b32 v13, v18, 16, v13
	global_store_dword v[23:24], v12, off
	global_store_dword v[42:43], v13, off
	v_cndmask_b32_e64 v2, 0, 1, vcc_lo
	v_cmp_eq_u32_e32 vcc_lo, 0x40f, v60
	v_mul_f16_sdwa v23, v3, v25 dst_sel:DWORD dst_unused:UNUSED_PAD src0_sel:DWORD src1_sel:WORD_1
	v_and_or_b32 v18, 0xffe, v4, v2
	v_cndmask_b32_e32 v6, v5, v36, vcc_lo
	v_cmp_lt_i32_e32 vcc_lo, 5, v72
	v_mul_f64 v[4:5], v[44:45], s[18:19]
	v_sub_nc_u32_e32 v2, 0x3f1, v8
	v_or_b32_e32 v11, 0x1000, v18
	v_and_or_b32 v27, 0x8000, v7, v6
	s_or_b32 vcc_lo, s0, vcc_lo
	v_cvt_f32_f16_e32 v6, v19
	v_add_co_ci_u32_e32 v10, vcc_lo, 0, v10, vcc_lo
	v_med3_i32 v2, v2, 0, 13
	v_cmp_ne_u32_e32 vcc_lo, 0, v38
	v_cvt_f64_f32_e32 v[6:7], v6
	v_lshrrev_b32_e32 v19, 16, v39
	v_fma_f16 v9, v25, v9, -v23
	v_lshrrev_b32_e32 v26, v2, v11
	v_cndmask_b32_e64 v21, 0, 1, vcc_lo
	v_cmp_gt_i32_e32 vcc_lo, 31, v62
	v_cvt_f32_f16_e32 v9, v9
	v_lshlrev_b32_e32 v2, v2, v26
	v_lshl_or_b32 v21, v21, 9, 0x7c00
	v_cndmask_b32_e32 v10, 0x7c00, v10, vcc_lo
	v_cmp_eq_u32_e32 vcc_lo, 0x40f, v62
	v_and_or_b32 v4, 0x1ff, v5, v4
	v_cndmask_b32_e32 v10, v10, v21, vcc_lo
	v_cmp_ne_u32_e32 vcc_lo, v2, v11
	v_add_nc_u32_e32 v21, 0xfffffc10, v8
	v_lshrrev_b32_e32 v8, 8, v5
	v_bfe_u32 v11, v5, 20, 11
	v_and_or_b32 v10, 0x8000, v19, v10
	v_cndmask_b32_e64 v2, 0, 1, vcc_lo
	v_cmp_ne_u32_e32 vcc_lo, 0, v4
	v_lshl_or_b32 v19, v21, 12, v18
	v_mul_f64 v[6:7], v[6:7], s[18:19]
	v_or_b32_e32 v2, v26, v2
	v_cndmask_b32_e64 v4, 0, 1, vcc_lo
	v_cmp_gt_i32_e32 vcc_lo, 1, v21
	v_and_b32_e32 v26, 0xffff, v27
	v_and_or_b32 v4, 0xffe, v8, v4
	v_sub_nc_u32_e32 v8, 0x3f1, v11
	v_cndmask_b32_e32 v19, v19, v2, vcc_lo
	v_lshl_or_b32 v12, v10, 16, v26
	v_add_co_u32 v2, vcc_lo, v42, s17
	v_or_b32_e32 v27, 0x1000, v4
	v_med3_i32 v8, v8, 0, 13
	v_and_b32_e32 v10, 7, v19
	v_add_co_ci_u32_e32 v3, vcc_lo, s20, v43, vcc_lo
	v_lshrrev_b32_e32 v13, v8, v27
	v_cmp_lt_i32_e32 vcc_lo, 5, v10
	v_cmp_eq_u32_e64 s0, 3, v10
	v_lshrrev_b32_e32 v10, 2, v19
	v_add_nc_u32_e32 v19, 0xfffffc10, v11
	v_lshlrev_b32_e32 v8, v8, v13
	v_and_or_b32 v6, 0x1ff, v7, v6
	s_or_b32 vcc_lo, s0, vcc_lo
	v_bfe_u32 v25, v7, 20, 11
	v_add_co_ci_u32_e32 v23, vcc_lo, 0, v10, vcc_lo
	v_cmp_ne_u32_e64 s1, v8, v27
	v_cmp_ne_u32_e32 vcc_lo, 0, v18
	v_lshl_or_b32 v24, v19, 12, v4
	ds_read2_b32 v[10:11], v17 offset0:2 offset1:112
	global_store_dword v[2:3], v12, off
	v_cndmask_b32_e64 v8, 0, 1, s1
	v_cndmask_b32_e64 v17, 0, 1, vcc_lo
	v_cmp_gt_i32_e32 vcc_lo, 1, v19
	v_or_b32_e32 v13, v13, v8
	v_cvt_f64_f32_e32 v[8:9], v9
	v_lshl_or_b32 v17, v17, 9, 0x7c00
	v_cndmask_b32_e32 v13, v24, v13, vcc_lo
	v_cmp_gt_i32_e32 vcc_lo, 31, v21
	v_lshrrev_b32_e32 v24, 8, v7
	v_cndmask_b32_e32 v18, 0x7c00, v23, vcc_lo
	v_cmp_ne_u32_e32 vcc_lo, 0, v6
	v_and_b32_e32 v23, 7, v13
	v_lshrrev_b32_e32 v13, 2, v13
	v_cndmask_b32_e64 v6, 0, 1, vcc_lo
	v_cmp_eq_u32_e32 vcc_lo, 0x40f, v21
	v_cmp_eq_u32_e64 s0, 3, v23
	v_sub_nc_u32_e32 v21, 0x3f1, v25
	v_and_or_b32 v6, 0xffe, v24, v6
	v_cndmask_b32_e32 v17, v18, v17, vcc_lo
	v_cmp_lt_i32_e32 vcc_lo, 5, v23
	v_mul_f64 v[8:9], v[8:9], s[18:19]
	s_waitcnt lgkmcnt(0)
	v_lshrrev_b32_e32 v24, 16, v10
	v_or_b32_e32 v23, 0x1000, v6
	v_med3_i32 v21, v21, 0, 13
	s_or_b32 vcc_lo, s0, vcc_lo
	v_lshrrev_b32_e32 v18, 16, v41
	v_add_co_ci_u32_e32 v13, vcc_lo, 0, v13, vcc_lo
	v_cmp_ne_u32_e32 vcc_lo, 0, v4
	s_waitcnt vmcnt(4)
	v_mul_f16_sdwa v26, v24, v22 dst_sel:DWORD dst_unused:UNUSED_PAD src0_sel:DWORD src1_sel:WORD_1
	v_lshrrev_b32_e32 v27, v21, v23
	v_and_or_b32 v17, 0x8000, v18, v17
	v_cndmask_b32_e64 v4, 0, 1, vcc_lo
	v_cmp_gt_i32_e32 vcc_lo, 31, v19
	v_fmac_f16_e32 v26, v10, v22
	v_lshlrev_b32_e32 v18, v21, v27
	v_mul_f16_sdwa v10, v10, v22 dst_sel:DWORD dst_unused:UNUSED_PAD src0_sel:DWORD src1_sel:WORD_1
	v_lshl_or_b32 v4, v4, 9, 0x7c00
	v_cndmask_b32_e32 v13, 0x7c00, v13, vcc_lo
	v_cmp_eq_u32_e32 vcc_lo, 0x40f, v19
	v_cvt_f32_f16_e32 v21, v26
	v_and_or_b32 v8, 0x1ff, v9, v8
	v_lshrrev_b32_e32 v19, 16, v5
	v_and_b32_e32 v17, 0xffff, v17
	v_cndmask_b32_e32 v13, v13, v4, vcc_lo
	v_cmp_ne_u32_e32 vcc_lo, v18, v23
	v_cvt_f64_f32_e32 v[4:5], v21
	v_add_nc_u32_e32 v21, 0xfffffc10, v25
	v_lshrrev_b32_e32 v23, 8, v9
	v_bfe_u32 v25, v9, 20, 11
	v_cndmask_b32_e64 v18, 0, 1, vcc_lo
	v_cmp_ne_u32_e32 vcc_lo, 0, v8
	v_and_or_b32 v13, 0x8000, v19, v13
	v_lshl_or_b32 v19, v21, 12, v6
	v_fma_f16 v10, v22, v24, -v10
	v_or_b32_e32 v18, v27, v18
	v_cndmask_b32_e64 v8, 0, 1, vcc_lo
	v_cmp_gt_i32_e32 vcc_lo, 1, v21
	v_lshl_or_b32 v17, v13, 16, v17
	v_cvt_f32_f16_e32 v10, v10
	v_add_nc_u32_e32 v22, 0xfffffc10, v25
	v_and_or_b32 v8, 0xffe, v23, v8
	v_sub_nc_u32_e32 v23, 0x3f1, v25
	v_cndmask_b32_e32 v18, v19, v18, vcc_lo
	v_add_co_u32 v2, vcc_lo, v2, s17
	v_or_b32_e32 v19, 0x1000, v8
	v_med3_i32 v23, v23, 0, 13
	v_and_b32_e32 v12, 7, v18
	v_mul_f64 v[4:5], v[4:5], s[18:19]
	v_add_co_ci_u32_e32 v3, vcc_lo, s20, v3, vcc_lo
	v_lshrrev_b32_e32 v26, v23, v19
	v_cmp_lt_i32_e32 vcc_lo, 5, v12
	v_cmp_eq_u32_e64 s0, 3, v12
	v_lshrrev_b32_e32 v18, 2, v18
	v_lshrrev_b32_e32 v24, 16, v7
	v_lshlrev_b32_e32 v13, v23, v26
	v_lshrrev_b32_e32 v9, 16, v9
	s_or_b32 vcc_lo, s0, vcc_lo
	global_store_dword v[2:3], v17, off
	v_cmp_ne_u32_e64 s1, v13, v19
	v_cvt_f64_f32_e32 v[12:13], v10
	v_add_co_ci_u32_e32 v10, vcc_lo, 0, v18, vcc_lo
	v_cmp_ne_u32_e32 vcc_lo, 0, v6
	v_cndmask_b32_e64 v19, 0, 1, s1
	v_cndmask_b32_e64 v6, 0, 1, vcc_lo
	v_cmp_gt_i32_e32 vcc_lo, 31, v21
	v_or_b32_e32 v18, v26, v19
	v_lshl_or_b32 v19, v22, 12, v8
	v_and_or_b32 v4, 0x1ff, v5, v4
	v_lshl_or_b32 v6, v6, 9, 0x7c00
	v_cndmask_b32_e32 v10, 0x7c00, v10, vcc_lo
	v_cmp_gt_i32_e32 vcc_lo, 1, v22
	v_bfe_u32 v23, v5, 20, 11
	v_cndmask_b32_e32 v18, v19, v18, vcc_lo
	v_cmp_ne_u32_e32 vcc_lo, 0, v4
	v_lshrrev_b32_e32 v19, 8, v5
	v_cndmask_b32_e64 v4, 0, 1, vcc_lo
	v_cmp_eq_u32_e32 vcc_lo, 0x40f, v21
	v_and_b32_e32 v21, 7, v18
	v_and_or_b32 v4, 0xffe, v19, v4
	v_cndmask_b32_e32 v10, v10, v6, vcc_lo
	v_cmp_lt_i32_e32 vcc_lo, 5, v21
	v_cmp_eq_u32_e64 s0, 3, v21
	v_mul_f64 v[6:7], v[12:13], s[18:19]
	v_lshrrev_b32_e32 v12, 2, v18
	v_sub_nc_u32_e32 v19, 0x3f1, v23
	v_or_b32_e32 v13, 0x1000, v4
	s_or_b32 vcc_lo, s0, vcc_lo
	v_and_or_b32 v10, 0x8000, v24, v10
	v_add_co_ci_u32_e32 v12, vcc_lo, 0, v12, vcc_lo
	v_med3_i32 v18, v19, 0, 13
	v_cmp_ne_u32_e32 vcc_lo, 0, v8
	v_lshrrev_b32_e32 v19, 16, v11
	v_and_b32_e32 v10, 0xffff, v10
	v_lshrrev_b32_e32 v21, v18, v13
	v_cndmask_b32_e64 v8, 0, 1, vcc_lo
	v_cmp_gt_i32_e32 vcc_lo, 31, v22
	s_waitcnt vmcnt(3)
	v_mul_f16_sdwa v25, v19, v20 dst_sel:DWORD dst_unused:UNUSED_PAD src0_sel:DWORD src1_sel:WORD_1
	v_lshlrev_b32_e32 v18, v18, v21
	v_lshl_or_b32 v8, v8, 9, 0x7c00
	v_cndmask_b32_e32 v12, 0x7c00, v12, vcc_lo
	v_cmp_eq_u32_e32 vcc_lo, 0x40f, v22
	v_and_or_b32 v6, 0x1ff, v7, v6
	v_fmac_f16_e32 v25, v11, v20
	v_add_nc_u32_e32 v22, 0xfffffc10, v23
	v_lshrrev_b32_e32 v23, 8, v7
	v_cndmask_b32_e32 v8, v12, v8, vcc_lo
	v_cmp_ne_u32_e32 vcc_lo, v18, v13
	v_cvt_f32_f16_e32 v12, v25
	v_bfe_u32 v24, v7, 20, 11
	v_mul_f16_sdwa v11, v11, v20 dst_sel:DWORD dst_unused:UNUSED_PAD src0_sel:DWORD src1_sel:WORD_1
	v_and_or_b32 v8, 0x8000, v9, v8
	v_cndmask_b32_e64 v18, 0, 1, vcc_lo
	v_cmp_ne_u32_e32 vcc_lo, 0, v6
	v_cvt_f64_f32_e32 v[12:13], v12
	v_lshrrev_b32_e32 v7, 16, v7
	v_lshl_or_b32 v25, v8, 16, v10
	v_or_b32_e32 v18, v21, v18
	v_cndmask_b32_e64 v6, 0, 1, vcc_lo
	v_lshl_or_b32 v21, v22, 12, v4
	v_cmp_gt_i32_e32 vcc_lo, 1, v22
	v_fma_f16 v10, v20, v19, -v11
	v_add_nc_u32_e32 v20, 0xfffffc10, v24
	v_and_or_b32 v6, 0xffe, v23, v6
	v_sub_nc_u32_e32 v23, 0x3f1, v24
	v_cndmask_b32_e32 v18, v21, v18, vcc_lo
	v_or_b32_e32 v21, 0x1000, v6
	v_med3_i32 v9, v23, 0, 13
	v_and_b32_e32 v23, 7, v18
	v_lshrrev_b32_e32 v18, 2, v18
	v_lshrrev_b32_e32 v17, v9, v21
	v_cmp_lt_i32_e32 vcc_lo, 5, v23
	v_cmp_eq_u32_e64 s0, 3, v23
	v_lshlrev_b32_e32 v11, v9, v17
	v_mul_f64 v[8:9], v[12:13], s[18:19]
	v_add_nc_u32_e32 v12, 0xe00, v33
	v_cvt_f32_f16_e32 v13, v10
	s_or_b32 vcc_lo, s0, vcc_lo
	v_cmp_ne_u32_e64 s1, v11, v21
	v_add_co_ci_u32_e32 v18, vcc_lo, 0, v18, vcc_lo
	ds_read2_b32 v[10:11], v12 offset0:94 offset1:204
	v_add_co_u32 v2, vcc_lo, v2, s17
	v_cndmask_b32_e64 v19, 0, 1, s1
	v_add_co_ci_u32_e32 v3, vcc_lo, s20, v3, vcc_lo
	v_cmp_gt_i32_e32 vcc_lo, 1, v20
	v_cvt_f64_f32_e32 v[12:13], v13
	v_or_b32_e32 v17, v17, v19
	v_lshl_or_b32 v19, v20, 12, v6
	global_store_dword v[2:3], v25, off
	v_cndmask_b32_e32 v17, v19, v17, vcc_lo
	v_cmp_gt_i32_e32 vcc_lo, 31, v22
	v_and_or_b32 v8, 0x1ff, v9, v8
	v_lshrrev_b32_e32 v23, 8, v9
	v_bfe_u32 v24, v9, 20, 11
	v_cndmask_b32_e32 v19, 0x7c00, v18, vcc_lo
	v_cmp_ne_u32_e32 vcc_lo, 0, v4
	s_waitcnt lgkmcnt(0)
	v_lshrrev_b32_e32 v21, 16, v10
	v_and_b32_e32 v18, 7, v17
	v_lshrrev_b32_e32 v17, 2, v17
	v_cndmask_b32_e64 v4, 0, 1, vcc_lo
	v_cmp_ne_u32_e32 vcc_lo, 0, v8
	s_waitcnt vmcnt(2)
	v_mul_f16_sdwa v26, v21, v16 dst_sel:DWORD dst_unused:UNUSED_PAD src0_sel:DWORD src1_sel:WORD_1
	v_cmp_eq_u32_e64 s0, 3, v18
	v_mul_f64 v[12:13], v[12:13], s[18:19]
	v_lshl_or_b32 v4, v4, 9, 0x7c00
	v_cndmask_b32_e64 v8, 0, 1, vcc_lo
	v_cmp_lt_i32_e32 vcc_lo, 5, v18
	v_fmac_f16_e32 v26, v10, v16
	v_and_or_b32 v8, 0xffe, v23, v8
	v_sub_nc_u32_e32 v23, 0x3f1, v24
	s_or_b32 vcc_lo, s0, vcc_lo
	v_cvt_f32_f16_e32 v18, v26
	v_add_co_ci_u32_e32 v26, vcc_lo, 0, v17, vcc_lo
	v_or_b32_e32 v27, 0x1000, v8
	v_med3_i32 v23, v23, 0, 13
	v_cmp_eq_u32_e32 vcc_lo, 0x40f, v22
	v_cvt_f64_f32_e32 v[17:18], v18
	v_lshrrev_b32_e32 v22, 16, v5
	v_lshrrev_b32_e32 v28, v23, v27
	v_cndmask_b32_e32 v19, v19, v4, vcc_lo
	v_cmp_gt_i32_e32 vcc_lo, 31, v20
	v_and_or_b32 v5, 0x1ff, v13, v12
	v_add_nc_u32_e32 v12, 0xfffffc10, v24
	v_lshlrev_b32_e32 v4, v23, v28
	v_lshrrev_b32_e32 v24, 8, v13
	v_cndmask_b32_e32 v23, 0x7c00, v26, vcc_lo
	v_cmp_ne_u32_e32 vcc_lo, 0, v6
	v_bfe_u32 v26, v13, 20, 11
	v_and_or_b32 v19, 0x8000, v22, v19
	v_lshrrev_b32_e32 v13, 16, v13
	v_cndmask_b32_e64 v6, 0, 1, vcc_lo
	v_cmp_ne_u32_e32 vcc_lo, v4, v27
	v_sub_nc_u32_e32 v29, 0x3f1, v26
	v_and_b32_e32 v19, 0xffff, v19
	v_lshl_or_b32 v6, v6, 9, 0x7c00
	v_cndmask_b32_e64 v4, 0, 1, vcc_lo
	v_cmp_ne_u32_e32 vcc_lo, 0, v5
	v_or_b32_e32 v27, v28, v4
	v_cndmask_b32_e64 v5, 0, 1, vcc_lo
	v_cmp_eq_u32_e32 vcc_lo, 0x40f, v20
	v_lshl_or_b32 v28, v12, 12, v8
	v_and_or_b32 v24, 0xffe, v24, v5
	v_mul_f64 v[4:5], v[17:18], s[18:19]
	v_cndmask_b32_e32 v6, v23, v6, vcc_lo
	v_cmp_gt_i32_e32 vcc_lo, 1, v12
	v_med3_i32 v18, v29, 0, 13
	v_or_b32_e32 v17, 0x1000, v24
	v_and_or_b32 v25, 0x8000, v7, v6
	v_cndmask_b32_e32 v20, v28, v27, vcc_lo
	v_mul_f16_sdwa v6, v10, v16 dst_sel:DWORD dst_unused:UNUSED_PAD src0_sel:DWORD src1_sel:WORD_1
	v_lshrrev_b32_e32 v22, v18, v17
	v_lshl_or_b32 v19, v25, 16, v19
	v_and_b32_e32 v23, 7, v20
	v_lshrrev_b32_e32 v10, 2, v20
	v_lshlrev_b32_e32 v7, v18, v22
	v_fma_f16 v6, v16, v21, -v6
	v_add_nc_u32_e32 v16, 0xfffffc10, v26
	v_cmp_lt_i32_e32 vcc_lo, 5, v23
	v_cmp_eq_u32_e64 s0, 3, v23
	v_cmp_ne_u32_e64 s1, v7, v17
	v_cvt_f32_f16_e32 v6, v6
	v_lshl_or_b32 v18, v16, 12, v24
	v_and_or_b32 v4, 0x1ff, v5, v4
	s_or_b32 vcc_lo, s0, vcc_lo
	v_cndmask_b32_e64 v7, 0, 1, s1
	v_add_co_ci_u32_e32 v10, vcc_lo, 0, v10, vcc_lo
	v_cmp_ne_u32_e32 vcc_lo, 0, v4
	v_lshrrev_b32_e32 v20, 8, v5
	v_or_b32_e32 v17, v22, v7
	v_cvt_f64_f32_e32 v[6:7], v6
	v_bfe_u32 v21, v5, 20, 11
	v_cndmask_b32_e64 v4, 0, 1, vcc_lo
	v_cmp_ne_u32_e32 vcc_lo, 0, v8
	v_add_co_u32 v2, s1, v2, s17
	v_add_co_ci_u32_e64 v3, s1, s20, v3, s1
	v_cndmask_b32_e64 v8, 0, 1, vcc_lo
	v_cmp_gt_i32_e32 vcc_lo, 1, v16
	v_and_or_b32 v4, 0xffe, v20, v4
	v_lshl_or_b32 v8, v8, 9, 0x7c00
	v_cndmask_b32_e32 v17, v18, v17, vcc_lo
	v_cmp_gt_i32_e32 vcc_lo, 31, v12
	v_sub_nc_u32_e32 v18, 0x3f1, v21
	v_or_b32_e32 v22, 0x1000, v4
	v_add_nc_u32_e32 v21, 0xfffffc10, v21
	v_and_b32_e32 v20, 7, v17
	v_cndmask_b32_e32 v10, 0x7c00, v10, vcc_lo
	v_cmp_eq_u32_e32 vcc_lo, 0x40f, v12
	v_med3_i32 v18, v18, 0, 13
	v_lshrrev_b32_e32 v12, 16, v11
	v_cmp_eq_u32_e64 s0, 3, v20
	v_mul_f64 v[6:7], v[6:7], s[18:19]
	v_cndmask_b32_e32 v10, v10, v8, vcc_lo
	v_cmp_lt_i32_e32 vcc_lo, 5, v20
	v_lshrrev_b32_e32 v20, 16, v9
	v_lshrrev_b32_e32 v9, 2, v17
	;; [unrolled: 1-line block ×3, first 2 shown]
	s_waitcnt vmcnt(1)
	v_mul_f16_sdwa v17, v12, v14 dst_sel:DWORD dst_unused:UNUSED_PAD src0_sel:DWORD src1_sel:WORD_1
	s_or_b32 vcc_lo, s0, vcc_lo
	v_and_or_b32 v10, 0x8000, v20, v10
	v_add_co_ci_u32_e32 v9, vcc_lo, 0, v9, vcc_lo
	v_lshlrev_b32_e32 v18, v18, v8
	v_cmp_ne_u32_e32 vcc_lo, 0, v24
	v_fmac_f16_e32 v17, v11, v14
	v_and_b32_e32 v10, 0xffff, v10
	v_mul_f16_sdwa v24, v11, v14 dst_sel:DWORD dst_unused:UNUSED_PAD src0_sel:DWORD src1_sel:WORD_1
	v_cndmask_b32_e64 v23, 0, 1, vcc_lo
	v_cmp_ne_u32_e32 vcc_lo, v18, v22
	v_cvt_f32_f16_e32 v17, v17
	v_fma_f16 v12, v14, v12, -v24
	v_lshl_or_b32 v23, v23, 9, 0x7c00
	v_cndmask_b32_e64 v18, 0, 1, vcc_lo
	v_cmp_gt_i32_e32 vcc_lo, 31, v16
	v_and_or_b32 v6, 0x1ff, v7, v6
	v_cvt_f32_f16_e32 v12, v12
	v_or_b32_e32 v18, v8, v18
	v_cndmask_b32_e32 v22, 0x7c00, v9, vcc_lo
	v_cmp_eq_u32_e32 vcc_lo, 0x40f, v16
	v_cvt_f64_f32_e32 v[8:9], v17
	v_lshl_or_b32 v17, v21, 12, v4
	v_cndmask_b32_e32 v16, v22, v23, vcc_lo
	v_cmp_gt_i32_e32 vcc_lo, 1, v21
	v_bfe_u32 v22, v7, 20, 11
	v_and_or_b32 v13, 0x8000, v13, v16
	v_cndmask_b32_e32 v17, v17, v18, vcc_lo
	v_cmp_ne_u32_e32 vcc_lo, 0, v6
	v_lshrrev_b32_e32 v18, 8, v7
	v_sub_nc_u32_e32 v16, 0x3f1, v22
	v_and_b32_e32 v20, 7, v17
	v_cndmask_b32_e64 v6, 0, 1, vcc_lo
	v_lshrrev_b32_e32 v17, 2, v17
	v_med3_i32 v16, v16, 0, 13
	v_cmp_lt_i32_e32 vcc_lo, 5, v20
	v_and_or_b32 v6, 0xffe, v18, v6
	v_cmp_eq_u32_e64 s0, 3, v20
	v_mul_f64 v[8:9], v[8:9], s[18:19]
	v_lshl_or_b32 v20, v13, 16, v10
	v_or_b32_e32 v18, 0x1000, v6
	s_or_b32 vcc_lo, s0, vcc_lo
	v_add_co_ci_u32_e32 v10, vcc_lo, 0, v17, vcc_lo
	v_lshrrev_b32_e32 v13, v16, v18
	v_cmp_ne_u32_e32 vcc_lo, 0, v4
	v_add_nc_u32_e32 v17, 0x1200, v33
	v_lshlrev_b32_e32 v16, v16, v13
	v_cndmask_b32_e64 v4, 0, 1, vcc_lo
	v_cmp_gt_i32_e32 vcc_lo, 31, v21
	v_lshl_or_b32 v4, v4, 9, 0x7c00
	v_cndmask_b32_e32 v23, 0x7c00, v10, vcc_lo
	v_cmp_ne_u32_e32 vcc_lo, v16, v18
	ds_read2_b32 v[10:11], v17 offset0:58 offset1:168
	v_and_or_b32 v8, 0x1ff, v9, v8
	v_add_nc_u32_e32 v18, 0xfffffc10, v22
	v_lshrrev_b32_e32 v17, 8, v9
	v_cndmask_b32_e64 v16, 0, 1, vcc_lo
	v_cmp_eq_u32_e32 vcc_lo, 0x40f, v21
	v_bfe_u32 v21, v9, 20, 11
	v_lshrrev_b32_e32 v9, 16, v9
	v_cndmask_b32_e32 v14, v23, v4, vcc_lo
	v_cmp_ne_u32_e32 vcc_lo, 0, v8
	v_or_b32_e32 v4, v13, v16
	v_lshl_or_b32 v16, v18, 12, v6
	v_cvt_f64_f32_e32 v[12:13], v12
	v_cndmask_b32_e64 v8, 0, 1, vcc_lo
	v_cmp_gt_i32_e32 vcc_lo, 1, v18
	s_waitcnt lgkmcnt(0)
	v_lshrrev_b32_e32 v22, 16, v10
	v_and_or_b32 v8, 0xffe, v17, v8
	v_cndmask_b32_e32 v16, v16, v4, vcc_lo
	v_sub_nc_u32_e32 v4, 0x3f1, v21
	v_lshrrev_b32_e32 v17, 16, v5
	s_waitcnt vmcnt(0)
	v_mul_f16_sdwa v26, v22, v15 dst_sel:DWORD dst_unused:UNUSED_PAD src0_sel:DWORD src1_sel:WORD_1
	v_or_b32_e32 v24, 0x1000, v8
	v_and_b32_e32 v23, 7, v16
	v_med3_i32 v25, v4, 0, 13
	v_add_co_u32 v4, vcc_lo, v2, s17
	v_and_or_b32 v27, 0x8000, v17, v14
	v_add_co_ci_u32_e32 v5, vcc_lo, s20, v3, vcc_lo
	v_lshrrev_b32_e32 v14, v25, v24
	v_cmp_lt_i32_e32 vcc_lo, 5, v23
	v_cmp_eq_u32_e64 s0, 3, v23
	v_fmac_f16_e32 v26, v10, v15
	v_lshrrev_b32_e32 v16, 2, v16
	v_lshlrev_b32_e32 v23, v25, v14
	v_mul_f64 v[12:13], v[12:13], s[18:19]
	s_or_b32 vcc_lo, s0, vcc_lo
	v_cvt_f32_f16_e32 v17, v26
	v_add_co_ci_u32_e32 v25, vcc_lo, 0, v16, vcc_lo
	v_cmp_ne_u32_e32 vcc_lo, v23, v24
	v_add_nc_u32_e32 v21, 0xfffffc10, v21
	v_cvt_f64_f32_e32 v[16:17], v17
	v_mul_f16_sdwa v10, v10, v15 dst_sel:DWORD dst_unused:UNUSED_PAD src0_sel:DWORD src1_sel:WORD_1
	v_cndmask_b32_e64 v23, 0, 1, vcc_lo
	v_cmp_ne_u32_e32 vcc_lo, 0, v6
	v_fma_f16 v10, v15, v22, -v10
	v_or_b32_e32 v14, v14, v23
	v_cndmask_b32_e64 v6, 0, 1, vcc_lo
	v_cmp_gt_i32_e32 vcc_lo, 31, v18
	v_lshl_or_b32 v23, v21, 12, v8
	v_cvt_f32_f16_e32 v10, v10
	v_lshl_or_b32 v6, v6, 9, 0x7c00
	v_cndmask_b32_e32 v15, 0x7c00, v25, vcc_lo
	v_cmp_gt_i32_e32 vcc_lo, 1, v21
	v_and_or_b32 v12, 0x1ff, v13, v12
	v_cndmask_b32_e32 v22, v23, v14, vcc_lo
	v_cmp_eq_u32_e32 vcc_lo, 0x40f, v18
	v_lshrrev_b32_e32 v23, 16, v7
	v_cndmask_b32_e32 v18, v15, v6, vcc_lo
	v_mul_f64 v[14:15], v[16:17], s[18:19]
	v_cvt_f64_f32_e32 v[6:7], v10
	v_cmp_ne_u32_e32 vcc_lo, 0, v12
	v_and_b32_e32 v10, 7, v22
	v_and_or_b32 v18, 0x8000, v23, v18
	v_and_b32_e32 v23, 0xffff, v27
	v_lshrrev_b32_e32 v16, 8, v13
	v_cndmask_b32_e64 v12, 0, 1, vcc_lo
	v_bfe_u32 v17, v13, 20, 11
	v_cmp_lt_i32_e32 vcc_lo, 5, v10
	v_cmp_eq_u32_e64 s0, 3, v10
	v_lshl_or_b32 v10, v18, 16, v23
	v_lshrrev_b32_e32 v18, 2, v22
	v_and_or_b32 v12, 0xffe, v16, v12
	v_sub_nc_u32_e32 v16, 0x3f1, v17
	s_or_b32 vcc_lo, s0, vcc_lo
	v_add_nc_u32_e32 v17, 0xfffffc10, v17
	v_add_co_ci_u32_e32 v18, vcc_lo, 0, v18, vcc_lo
	v_or_b32_e32 v22, 0x1000, v12
	v_med3_i32 v16, v16, 0, 13
	v_cmp_ne_u32_e32 vcc_lo, 0, v8
	v_and_or_b32 v14, 0x1ff, v15, v14
	v_mul_f64 v[6:7], v[6:7], s[18:19]
	v_lshrrev_b32_e32 v24, 8, v15
	v_lshrrev_b32_e32 v23, v16, v22
	v_cndmask_b32_e64 v8, 0, 1, vcc_lo
	v_cmp_gt_i32_e32 vcc_lo, 31, v21
	v_bfe_u32 v25, v15, 20, 11
	v_lshrrev_b32_e32 v13, 16, v13
	v_lshlrev_b32_e32 v16, v16, v23
	v_lshl_or_b32 v8, v8, 9, 0x7c00
	v_cndmask_b32_e32 v18, 0x7c00, v18, vcc_lo
	v_cmp_ne_u32_e32 vcc_lo, 0, v14
	v_lshrrev_b32_e32 v15, 16, v15
	v_cndmask_b32_e64 v14, 0, 1, vcc_lo
	v_cmp_ne_u32_e32 vcc_lo, v16, v22
	v_sub_nc_u32_e32 v22, 0x3f1, v25
	v_and_or_b32 v14, 0xffe, v24, v14
	v_cndmask_b32_e64 v16, 0, 1, vcc_lo
	v_cmp_eq_u32_e32 vcc_lo, 0x40f, v21
	v_med3_i32 v22, v22, 0, 13
	v_and_or_b32 v6, 0x1ff, v7, v6
	v_or_b32_e32 v21, 0x1000, v14
	v_or_b32_e32 v16, v23, v16
	v_cndmask_b32_e32 v8, v18, v8, vcc_lo
	v_lshl_or_b32 v18, v17, 12, v12
	v_cmp_gt_i32_e32 vcc_lo, 1, v17
	v_lshrrev_b32_e32 v23, 8, v7
	v_bfe_u32 v24, v7, 20, 11
	v_and_or_b32 v8, 0x8000, v9, v8
	v_cndmask_b32_e32 v16, v18, v16, vcc_lo
	v_lshrrev_b32_e32 v18, v22, v21
	v_cmp_ne_u32_e32 vcc_lo, 0, v6
	v_sub_nc_u32_e32 v9, 0x3f1, v24
	v_and_b32_e32 v8, 0xffff, v8
	v_and_b32_e32 v26, 7, v16
	v_lshlrev_b32_e32 v22, v22, v18
	v_cndmask_b32_e64 v6, 0, 1, vcc_lo
	v_lshrrev_b32_e32 v16, 2, v16
	v_med3_i32 v9, v9, 0, 13
	v_cmp_lt_i32_e32 vcc_lo, 5, v26
	v_cmp_ne_u32_e64 s0, v22, v21
	v_and_or_b32 v6, 0xffe, v23, v6
	v_add_nc_u32_e32 v23, 0xfffffc10, v25
	v_cndmask_b32_e64 v21, 0, 1, s0
	v_cmp_eq_u32_e64 s0, 3, v26
	v_or_b32_e32 v22, 0x1000, v6
	v_lshl_or_b32 v25, v23, 12, v14
	v_or_b32_e32 v18, v18, v21
	s_or_b32 vcc_lo, s0, vcc_lo
	v_lshrrev_b32_e32 v21, v9, v22
	v_add_co_ci_u32_e32 v16, vcc_lo, 0, v16, vcc_lo
	v_cmp_gt_i32_e32 vcc_lo, 1, v23
	v_lshlrev_b32_e32 v9, v9, v21
	v_cndmask_b32_e32 v18, v25, v18, vcc_lo
	v_cmp_ne_u32_e32 vcc_lo, 0, v12
	v_cndmask_b32_e64 v12, 0, 1, vcc_lo
	v_cmp_ne_u32_e32 vcc_lo, v9, v22
	v_add_nc_u32_e32 v22, 0xfffffc10, v24
	v_and_b32_e32 v24, 7, v18
	v_lshl_or_b32 v12, v12, 9, 0x7c00
	v_cndmask_b32_e64 v9, 0, 1, vcc_lo
	v_cmp_gt_i32_e32 vcc_lo, 31, v17
	v_cmp_gt_i32_e64 s1, 1, v22
	v_cmp_eq_u32_e64 s0, 3, v24
	v_or_b32_e32 v9, v21, v9
	v_lshl_or_b32 v21, v22, 12, v6
	v_cndmask_b32_e32 v16, 0x7c00, v16, vcc_lo
	v_cmp_lt_i32_e32 vcc_lo, 5, v24
	v_cndmask_b32_e64 v9, v21, v9, s1
	v_cmp_eq_u32_e64 s1, 0x40f, v17
	s_or_b32 vcc_lo, s0, vcc_lo
	v_and_b32_e32 v17, 7, v9
	v_cndmask_b32_e64 v12, v16, v12, s1
	v_lshrrev_b32_e32 v16, 2, v18
	v_lshrrev_b32_e32 v9, 2, v9
	v_cmp_gt_i32_e64 s1, 31, v23
	v_cmp_eq_u32_e64 s0, 3, v17
	v_and_or_b32 v12, 0x8000, v13, v12
	v_add_co_ci_u32_e32 v16, vcc_lo, 0, v16, vcc_lo
	v_cmp_ne_u32_e32 vcc_lo, 0, v14
	v_cndmask_b32_e64 v16, 0x7c00, v16, s1
	v_cndmask_b32_e64 v14, 0, 1, vcc_lo
	v_cmp_lt_i32_e32 vcc_lo, 5, v17
	v_lshl_or_b32 v14, v14, 9, 0x7c00
	s_or_b32 vcc_lo, s0, vcc_lo
	v_add_co_ci_u32_e32 v9, vcc_lo, 0, v9, vcc_lo
	v_cmp_ne_u32_e32 vcc_lo, 0, v6
	v_cndmask_b32_e64 v6, 0, 1, vcc_lo
	v_cmp_eq_u32_e32 vcc_lo, 0x40f, v23
	v_lshl_or_b32 v6, v6, 9, 0x7c00
	v_cndmask_b32_e32 v14, v16, v14, vcc_lo
	v_cmp_gt_i32_e32 vcc_lo, 31, v22
	v_and_or_b32 v13, 0x8000, v15, v14
	v_cndmask_b32_e32 v9, 0x7c00, v9, vcc_lo
	v_cmp_eq_u32_e32 vcc_lo, 0x40f, v22
	v_lshrrev_b32_e32 v14, 16, v7
	v_lshl_or_b32 v15, v12, 16, v8
	v_and_b32_e32 v13, 0xffff, v13
	v_cndmask_b32_e32 v9, v9, v6, vcc_lo
	v_add_co_u32 v6, vcc_lo, v4, s17
	v_add_co_ci_u32_e32 v7, vcc_lo, s20, v5, vcc_lo
	v_and_or_b32 v12, 0x8000, v14, v9
	v_add_co_u32 v8, vcc_lo, v6, s17
	v_add_co_ci_u32_e32 v9, vcc_lo, s20, v7, vcc_lo
	v_lshl_or_b32 v14, v12, 16, v13
	v_add_co_u32 v12, vcc_lo, v8, s17
	v_add_co_ci_u32_e32 v13, vcc_lo, s20, v9, vcc_lo
	global_store_dword v[2:3], v19, off
	global_store_dword v[4:5], v20, off
	;; [unrolled: 1-line block ×5, first 2 shown]
	global_load_dword v0, v[0:1], off offset:1184
	v_lshrrev_b32_e32 v1, 16, v11
	s_waitcnt vmcnt(0)
	v_mul_f16_sdwa v2, v1, v0 dst_sel:DWORD dst_unused:UNUSED_PAD src0_sel:DWORD src1_sel:WORD_1
	v_mul_f16_sdwa v3, v11, v0 dst_sel:DWORD dst_unused:UNUSED_PAD src0_sel:DWORD src1_sel:WORD_1
	v_fmac_f16_e32 v2, v11, v0
	v_fma_f16 v0, v0, v1, -v3
	v_cvt_f32_f16_e32 v1, v2
	v_cvt_f32_f16_e32 v2, v0
	v_cvt_f64_f32_e32 v[0:1], v1
	v_cvt_f64_f32_e32 v[2:3], v2
	v_mul_f64 v[0:1], v[0:1], s[18:19]
	v_mul_f64 v[2:3], v[2:3], s[18:19]
	v_and_or_b32 v0, 0x1ff, v1, v0
	v_and_or_b32 v2, 0x1ff, v3, v2
	v_lshrrev_b32_e32 v4, 8, v1
	v_bfe_u32 v5, v1, 20, 11
	v_lshrrev_b32_e32 v6, 8, v3
	v_cmp_ne_u32_e32 vcc_lo, 0, v0
	v_bfe_u32 v7, v3, 20, 11
	v_lshrrev_b32_e32 v1, 16, v1
	v_lshrrev_b32_e32 v3, 16, v3
	v_cndmask_b32_e64 v0, 0, 1, vcc_lo
	v_cmp_ne_u32_e32 vcc_lo, 0, v2
	v_and_or_b32 v0, 0xffe, v4, v0
	v_cndmask_b32_e64 v2, 0, 1, vcc_lo
	v_sub_nc_u32_e32 v4, 0x3f1, v5
	v_add_nc_u32_e32 v5, 0xfffffc10, v5
	v_or_b32_e32 v8, 0x1000, v0
	v_and_or_b32 v2, 0xffe, v6, v2
	v_sub_nc_u32_e32 v6, 0x3f1, v7
	v_med3_i32 v4, v4, 0, 13
	v_add_nc_u32_e32 v7, 0xfffffc10, v7
	v_or_b32_e32 v9, 0x1000, v2
	v_med3_i32 v6, v6, 0, 13
	v_lshrrev_b32_e32 v10, v4, v8
	v_lshrrev_b32_e32 v11, v6, v9
	v_lshlrev_b32_e32 v4, v4, v10
	v_lshlrev_b32_e32 v6, v6, v11
	v_cmp_ne_u32_e32 vcc_lo, v4, v8
	v_lshl_or_b32 v8, v5, 12, v0
	v_cndmask_b32_e64 v4, 0, 1, vcc_lo
	v_cmp_ne_u32_e32 vcc_lo, v6, v9
	v_lshl_or_b32 v9, v7, 12, v2
	v_or_b32_e32 v4, v10, v4
	v_cndmask_b32_e64 v6, 0, 1, vcc_lo
	v_cmp_gt_i32_e32 vcc_lo, 1, v5
	v_or_b32_e32 v6, v11, v6
	v_cndmask_b32_e32 v4, v8, v4, vcc_lo
	v_cmp_gt_i32_e32 vcc_lo, 1, v7
	v_and_b32_e32 v8, 7, v4
	v_cndmask_b32_e32 v6, v9, v6, vcc_lo
	v_lshrrev_b32_e32 v4, 2, v4
	v_cmp_lt_i32_e32 vcc_lo, 5, v8
	v_cmp_eq_u32_e64 s0, 3, v8
	v_and_b32_e32 v9, 7, v6
	v_lshrrev_b32_e32 v6, 2, v6
	s_or_b32 vcc_lo, s0, vcc_lo
	v_cmp_lt_i32_e64 s1, 5, v9
	v_add_co_ci_u32_e32 v4, vcc_lo, 0, v4, vcc_lo
	v_cmp_eq_u32_e64 s2, 3, v9
	v_cmp_ne_u32_e32 vcc_lo, 0, v0
	v_cndmask_b32_e64 v0, 0, 1, vcc_lo
	s_or_b32 vcc_lo, s2, s1
	v_add_co_ci_u32_e32 v6, vcc_lo, 0, v6, vcc_lo
	v_cmp_ne_u32_e32 vcc_lo, 0, v2
	v_lshl_or_b32 v0, v0, 9, 0x7c00
	v_cndmask_b32_e64 v2, 0, 1, vcc_lo
	v_cmp_gt_i32_e32 vcc_lo, 31, v5
	v_lshl_or_b32 v2, v2, 9, 0x7c00
	v_cndmask_b32_e32 v4, 0x7c00, v4, vcc_lo
	v_cmp_gt_i32_e32 vcc_lo, 31, v7
	v_cndmask_b32_e32 v6, 0x7c00, v6, vcc_lo
	v_cmp_eq_u32_e32 vcc_lo, 0x40f, v5
	v_cndmask_b32_e32 v0, v4, v0, vcc_lo
	v_cmp_eq_u32_e32 vcc_lo, 0x40f, v7
	v_and_or_b32 v0, 0x8000, v1, v0
	v_cndmask_b32_e32 v2, v6, v2, vcc_lo
	v_and_b32_e32 v0, 0xffff, v0
	v_and_or_b32 v1, 0x8000, v3, v2
	v_lshl_or_b32 v2, v1, 16, v0
	v_add_co_u32 v0, vcc_lo, v12, s17
	v_add_co_ci_u32_e32 v1, vcc_lo, s20, v13, vcc_lo
	global_store_dword v[0:1], v2, off
.LBB0_23:
	s_endpgm
	.section	.rodata,"a",@progbits
	.p2align	6, 0x0
	.amdhsa_kernel bluestein_single_back_len1430_dim1_half_op_CI_CI
		.amdhsa_group_segment_fixed_size 5720
		.amdhsa_private_segment_fixed_size 0
		.amdhsa_kernarg_size 104
		.amdhsa_user_sgpr_count 6
		.amdhsa_user_sgpr_private_segment_buffer 1
		.amdhsa_user_sgpr_dispatch_ptr 0
		.amdhsa_user_sgpr_queue_ptr 0
		.amdhsa_user_sgpr_kernarg_segment_ptr 1
		.amdhsa_user_sgpr_dispatch_id 0
		.amdhsa_user_sgpr_flat_scratch_init 0
		.amdhsa_user_sgpr_private_segment_size 0
		.amdhsa_wavefront_size32 1
		.amdhsa_uses_dynamic_stack 0
		.amdhsa_system_sgpr_private_segment_wavefront_offset 0
		.amdhsa_system_sgpr_workgroup_id_x 1
		.amdhsa_system_sgpr_workgroup_id_y 0
		.amdhsa_system_sgpr_workgroup_id_z 0
		.amdhsa_system_sgpr_workgroup_info 0
		.amdhsa_system_vgpr_workitem_id 0
		.amdhsa_next_free_vgpr 108
		.amdhsa_next_free_sgpr 21
		.amdhsa_reserve_vcc 1
		.amdhsa_reserve_flat_scratch 0
		.amdhsa_float_round_mode_32 0
		.amdhsa_float_round_mode_16_64 0
		.amdhsa_float_denorm_mode_32 3
		.amdhsa_float_denorm_mode_16_64 3
		.amdhsa_dx10_clamp 1
		.amdhsa_ieee_mode 1
		.amdhsa_fp16_overflow 0
		.amdhsa_workgroup_processor_mode 1
		.amdhsa_memory_ordered 1
		.amdhsa_forward_progress 0
		.amdhsa_shared_vgpr_count 0
		.amdhsa_exception_fp_ieee_invalid_op 0
		.amdhsa_exception_fp_denorm_src 0
		.amdhsa_exception_fp_ieee_div_zero 0
		.amdhsa_exception_fp_ieee_overflow 0
		.amdhsa_exception_fp_ieee_underflow 0
		.amdhsa_exception_fp_ieee_inexact 0
		.amdhsa_exception_int_div_zero 0
	.end_amdhsa_kernel
	.text
.Lfunc_end0:
	.size	bluestein_single_back_len1430_dim1_half_op_CI_CI, .Lfunc_end0-bluestein_single_back_len1430_dim1_half_op_CI_CI
                                        ; -- End function
	.section	.AMDGPU.csdata,"",@progbits
; Kernel info:
; codeLenInByte = 24632
; NumSgprs: 23
; NumVgprs: 108
; ScratchSize: 0
; MemoryBound: 0
; FloatMode: 240
; IeeeMode: 1
; LDSByteSize: 5720 bytes/workgroup (compile time only)
; SGPRBlocks: 2
; VGPRBlocks: 13
; NumSGPRsForWavesPerEU: 23
; NumVGPRsForWavesPerEU: 108
; Occupancy: 9
; WaveLimiterHint : 1
; COMPUTE_PGM_RSRC2:SCRATCH_EN: 0
; COMPUTE_PGM_RSRC2:USER_SGPR: 6
; COMPUTE_PGM_RSRC2:TRAP_HANDLER: 0
; COMPUTE_PGM_RSRC2:TGID_X_EN: 1
; COMPUTE_PGM_RSRC2:TGID_Y_EN: 0
; COMPUTE_PGM_RSRC2:TGID_Z_EN: 0
; COMPUTE_PGM_RSRC2:TIDIG_COMP_CNT: 0
	.text
	.p2alignl 6, 3214868480
	.fill 48, 4, 3214868480
	.type	__hip_cuid_3e30d2396ff19860,@object ; @__hip_cuid_3e30d2396ff19860
	.section	.bss,"aw",@nobits
	.globl	__hip_cuid_3e30d2396ff19860
__hip_cuid_3e30d2396ff19860:
	.byte	0                               ; 0x0
	.size	__hip_cuid_3e30d2396ff19860, 1

	.ident	"AMD clang version 19.0.0git (https://github.com/RadeonOpenCompute/llvm-project roc-6.4.0 25133 c7fe45cf4b819c5991fe208aaa96edf142730f1d)"
	.section	".note.GNU-stack","",@progbits
	.addrsig
	.addrsig_sym __hip_cuid_3e30d2396ff19860
	.amdgpu_metadata
---
amdhsa.kernels:
  - .args:
      - .actual_access:  read_only
        .address_space:  global
        .offset:         0
        .size:           8
        .value_kind:     global_buffer
      - .actual_access:  read_only
        .address_space:  global
        .offset:         8
        .size:           8
        .value_kind:     global_buffer
      - .actual_access:  read_only
        .address_space:  global
        .offset:         16
        .size:           8
        .value_kind:     global_buffer
      - .actual_access:  read_only
        .address_space:  global
        .offset:         24
        .size:           8
        .value_kind:     global_buffer
      - .actual_access:  read_only
        .address_space:  global
        .offset:         32
        .size:           8
        .value_kind:     global_buffer
      - .offset:         40
        .size:           8
        .value_kind:     by_value
      - .address_space:  global
        .offset:         48
        .size:           8
        .value_kind:     global_buffer
      - .address_space:  global
        .offset:         56
        .size:           8
        .value_kind:     global_buffer
      - .address_space:  global
        .offset:         64
        .size:           8
        .value_kind:     global_buffer
      - .address_space:  global
        .offset:         72
        .size:           8
        .value_kind:     global_buffer
      - .offset:         80
        .size:           4
        .value_kind:     by_value
      - .address_space:  global
        .offset:         88
        .size:           8
        .value_kind:     global_buffer
      - .address_space:  global
        .offset:         96
        .size:           8
        .value_kind:     global_buffer
    .group_segment_fixed_size: 5720
    .kernarg_segment_align: 8
    .kernarg_segment_size: 104
    .language:       OpenCL C
    .language_version:
      - 2
      - 0
    .max_flat_workgroup_size: 143
    .name:           bluestein_single_back_len1430_dim1_half_op_CI_CI
    .private_segment_fixed_size: 0
    .sgpr_count:     23
    .sgpr_spill_count: 0
    .symbol:         bluestein_single_back_len1430_dim1_half_op_CI_CI.kd
    .uniform_work_group_size: 1
    .uses_dynamic_stack: false
    .vgpr_count:     108
    .vgpr_spill_count: 0
    .wavefront_size: 32
    .workgroup_processor_mode: 1
amdhsa.target:   amdgcn-amd-amdhsa--gfx1030
amdhsa.version:
  - 1
  - 2
...

	.end_amdgpu_metadata
